;; amdgpu-corpus repo=ROCm/rocFFT kind=compiled arch=gfx1030 opt=O3
	.text
	.amdgcn_target "amdgcn-amd-amdhsa--gfx1030"
	.amdhsa_code_object_version 6
	.protected	bluestein_single_fwd_len272_dim1_dp_op_CI_CI ; -- Begin function bluestein_single_fwd_len272_dim1_dp_op_CI_CI
	.globl	bluestein_single_fwd_len272_dim1_dp_op_CI_CI
	.p2align	8
	.type	bluestein_single_fwd_len272_dim1_dp_op_CI_CI,@function
bluestein_single_fwd_len272_dim1_dp_op_CI_CI: ; @bluestein_single_fwd_len272_dim1_dp_op_CI_CI
; %bb.0:
	s_load_dwordx4 s[12:15], s[4:5], 0x28
	v_mul_u32_u24_e32 v1, 0xf10, v0
	s_mov_b64 s[58:59], s[2:3]
	s_mov_b64 s[56:57], s[0:1]
	s_mov_b32 s0, exec_lo
	s_add_u32 s56, s56, s7
	v_lshrrev_b32_e32 v1, 16, v1
	s_addc_u32 s57, s57, 0
	v_mad_u64_u32 v[196:197], null, s6, 7, v[1:2]
	v_mov_b32_e32 v197, 0
	s_waitcnt lgkmcnt(0)
	v_cmpx_gt_u64_e64 s[12:13], v[196:197]
	s_cbranch_execz .LBB0_10
; %bb.1:
	s_clause 0x1
	s_load_dwordx4 s[8:11], s[4:5], 0x18
	s_load_dwordx4 s[0:3], s[4:5], 0x0
	v_mul_lo_u16 v1, v1, 17
	s_mov_b32 s7, 0x3fe6a09e
	s_mov_b32 s12, 0xcf328d46
	s_mov_b32 s13, 0xbfed906b
	s_load_dwordx2 s[4:5], s[4:5], 0x38
	v_sub_nc_u16 v65, v0, v1
	v_and_b32_e32 v176, 0xffff, v65
	v_lshlrev_b32_e32 v64, 4, v176
	v_mov_b32_e32 v253, v176
	s_waitcnt lgkmcnt(0)
	s_load_dwordx4 s[16:19], s[8:9], 0x0
	s_waitcnt lgkmcnt(0)
	v_mad_u64_u32 v[4:5], null, s18, v196, 0
	v_mad_u64_u32 v[6:7], null, s16, v176, 0
	s_mov_b32 s18, s12
	v_mov_b32_e32 v0, v5
	v_mov_b32_e32 v5, v7
	v_mad_u64_u32 v[7:8], null, s19, v196, v[0:1]
	v_mad_u64_u32 v[12:13], null, s17, v176, v[5:6]
	v_add_co_u32 v0, s6, s0, v64
	v_add_co_ci_u32_e64 v1, null, s1, 0, s6
	v_mov_b32_e32 v5, v7
	v_add_co_u32 v60, vcc_lo, 0x800, v0
	v_mov_b32_e32 v7, v12
	v_add_co_ci_u32_e32 v61, vcc_lo, 0, v1, vcc_lo
	v_lshlrev_b64 v[4:5], 4, v[4:5]
	s_clause 0x1
	global_load_dwordx4 v[151:154], v64, s[0:1]
	global_load_dwordx4 v[8:11], v64, s[0:1] offset:272
	v_lshlrev_b64 v[6:7], 4, v[6:7]
	s_clause 0x5
	global_load_dwordx4 v[20:23], v64, s[0:1] offset:544
	global_load_dwordx4 v[32:35], v64, s[0:1] offset:816
	;; [unrolled: 1-line block ×6, first 2 shown]
	buffer_store_dword v0, off, s[56:59], 0 offset:256 ; 4-byte Folded Spill
	v_add_co_u32 v0, vcc_lo, s14, v4
	buffer_store_dword v1, off, s[56:59], 0 offset:260 ; 4-byte Folded Spill
	v_add_co_ci_u32_e32 v1, vcc_lo, s15, v5, vcc_lo
	v_add_co_u32 v56, vcc_lo, v0, v6
	s_mul_i32 s1, s17, 0x110
	v_add_co_ci_u32_e32 v57, vcc_lo, v1, v7, vcc_lo
	s_mul_hi_u32 s6, s16, 0x110
	s_mul_i32 s0, s16, 0x110
	s_add_i32 s1, s6, s1
	v_add_co_u32 v58, vcc_lo, v56, s0
	v_add_co_ci_u32_e32 v59, vcc_lo, s1, v57, vcc_lo
	s_clause 0x5
	global_load_dwordx4 v[2:5], v[60:61], off offset:128
	global_load_dwordx4 v[12:15], v[60:61], off offset:400
	;; [unrolled: 1-line block ×6, first 2 shown]
	s_clause 0x1
	global_load_dwordx4 v[67:70], v[56:57], off
	global_load_dwordx4 v[71:74], v[58:59], off
	v_add_co_u32 v62, vcc_lo, v58, s0
	v_add_co_ci_u32_e32 v63, vcc_lo, s1, v59, vcc_lo
	v_mul_hi_u32 v0, 0x24924925, v196
	v_add_co_u32 v79, vcc_lo, v62, s0
	v_add_co_ci_u32_e32 v80, vcc_lo, s1, v63, vcc_lo
	s_mov_b32 s14, 0xa6aea964
	v_add_co_u32 v83, vcc_lo, v79, s0
	v_add_co_ci_u32_e32 v84, vcc_lo, s1, v80, vcc_lo
	s_clause 0x1
	global_load_dwordx4 v[75:78], v[62:63], off
	global_load_dwordx4 v[79:82], v[79:80], off
	v_add_co_u32 v56, vcc_lo, v83, s0
	v_add_co_ci_u32_e32 v57, vcc_lo, s1, v84, vcc_lo
	global_load_dwordx4 v[83:86], v[83:84], off
	v_add_co_u32 v58, vcc_lo, v56, s0
	v_add_co_ci_u32_e32 v59, vcc_lo, s1, v57, vcc_lo
	;; [unrolled: 3-line block ×10, first 2 shown]
	v_sub_nc_u32_e32 v1, v196, v0
	v_add_co_u32 v127, vcc_lo, v56, s0
	v_add_co_ci_u32_e32 v128, vcc_lo, s1, v57, vcc_lo
	global_load_dwordx4 v[119:122], v[62:63], off
	global_load_dwordx4 v[123:126], v[56:57], off
	s_clause 0x1
	global_load_dwordx4 v[56:59], v[60:61], off offset:1760
	global_load_dwordx4 v[60:63], v[60:61], off offset:2032
	global_load_dwordx4 v[127:130], v[127:128], off
	v_lshrrev_b32_e32 v1, 1, v1
	s_mov_b32 s0, 0x667f3bcd
	s_mov_b32 s1, 0xbfe6a09e
	;; [unrolled: 1-line block ×4, first 2 shown]
	v_add_nc_u32_e32 v0, v1, v0
	s_mov_b32 s17, 0x3fd87de2
	s_mov_b32 s19, 0x3fed906b
	;; [unrolled: 1-line block ×3, first 2 shown]
	v_cmp_gt_u16_e32 vcc_lo, 16, v65
	v_lshrrev_b32_e32 v0, 2, v0
	v_mul_lo_u32 v0, v0, 7
	v_sub_nc_u32_e32 v0, v196, v0
	v_mul_u32_u24_e32 v66, 0x110, v0
	v_lshlrev_b32_e32 v254, 4, v66
	v_or_b32_e32 v0, v66, v176
	v_add_nc_u32_e32 v255, v64, v254
	v_lshl_add_u32 v219, v176, 8, v254
	v_lshlrev_b32_e32 v220, 4, v0
                                        ; implicit-def: $vgpr176_vgpr177
	s_waitcnt vmcnt(17)
	v_mul_f64 v[131:132], v[69:70], v[153:154]
	s_waitcnt vmcnt(16)
	v_mul_f64 v[135:136], v[73:74], v[10:11]
	v_mul_f64 v[133:134], v[67:68], v[153:154]
	;; [unrolled: 1-line block ×3, first 2 shown]
	s_waitcnt vmcnt(15)
	v_mul_f64 v[139:140], v[77:78], v[22:23]
	s_waitcnt vmcnt(14)
	v_mul_f64 v[143:144], v[81:82], v[34:35]
	v_mul_f64 v[141:142], v[75:76], v[22:23]
	;; [unrolled: 1-line block ×3, first 2 shown]
	s_waitcnt vmcnt(13)
	v_mul_f64 v[147:148], v[85:86], v[42:43]
	v_fma_f64 v[67:68], v[67:68], v[151:152], v[131:132]
	buffer_store_dword v151, off, s[56:59], 0 offset:240 ; 4-byte Folded Spill
	buffer_store_dword v152, off, s[56:59], 0 offset:244 ; 4-byte Folded Spill
	;; [unrolled: 1-line block ×4, first 2 shown]
	v_fma_f64 v[71:72], v[71:72], v[8:9], v[135:136]
	buffer_store_dword v8, off, s[56:59], 0 offset:16 ; 4-byte Folded Spill
	buffer_store_dword v9, off, s[56:59], 0 offset:20 ; 4-byte Folded Spill
	;; [unrolled: 1-line block ×4, first 2 shown]
	v_mul_f64 v[149:150], v[83:84], v[42:43]
	s_waitcnt vmcnt(12)
	v_mul_f64 v[131:132], v[89:90], v[54:55]
	s_waitcnt vmcnt(11)
	v_mul_f64 v[135:136], v[93:94], v[50:51]
	v_fma_f64 v[75:76], v[75:76], v[20:21], v[139:140]
	buffer_store_dword v20, off, s[56:59], 0 offset:64 ; 4-byte Folded Spill
	buffer_store_dword v21, off, s[56:59], 0 offset:68 ; 4-byte Folded Spill
	;; [unrolled: 1-line block ×4, first 2 shown]
	v_fma_f64 v[79:80], v[79:80], v[32:33], v[143:144]
	buffer_store_dword v32, off, s[56:59], 0 offset:112 ; 4-byte Folded Spill
	buffer_store_dword v33, off, s[56:59], 0 offset:116 ; 4-byte Folded Spill
	;; [unrolled: 1-line block ×4, first 2 shown]
	s_waitcnt vmcnt(10)
	v_mul_f64 v[139:140], v[97:98], v[46:47]
	s_waitcnt vmcnt(9)
	v_mul_f64 v[143:144], v[101:102], v[4:5]
	v_fma_f64 v[83:84], v[83:84], v[40:41], v[147:148]
	buffer_store_dword v40, off, s[56:59], 0 offset:144 ; 4-byte Folded Spill
	buffer_store_dword v41, off, s[56:59], 0 offset:148 ; 4-byte Folded Spill
	buffer_store_dword v42, off, s[56:59], 0 offset:152 ; 4-byte Folded Spill
	buffer_store_dword v43, off, s[56:59], 0 offset:156 ; 4-byte Folded Spill
	s_waitcnt vmcnt(8)
	v_mul_f64 v[147:148], v[105:106], v[14:15]
	s_waitcnt vmcnt(7)
	v_mul_f64 v[153:154], v[107:108], v[18:19]
	;; [unrolled: 2-line block ×3, first 2 shown]
	v_mul_f64 v[157:158], v[111:112], v[26:27]
	s_waitcnt vmcnt(5)
	v_mul_f64 v[159:160], v[117:118], v[30:31]
	v_mul_f64 v[161:162], v[115:116], v[30:31]
	s_waitcnt vmcnt(4)
	v_mul_f64 v[163:164], v[121:122], v[38:39]
	;; [unrolled: 3-line block ×4, first 2 shown]
	v_mul_f64 v[173:174], v[127:128], v[62:63]
	v_fma_f64 v[111:112], v[111:112], v[24:25], v[155:156]
	v_fma_f64 v[115:116], v[115:116], v[28:29], v[159:160]
	;; [unrolled: 1-line block ×5, first 2 shown]
	v_fma_f64 v[69:70], v[69:70], v[151:152], -v[133:134]
	v_mul_f64 v[151:152], v[109:110], v[18:19]
	v_mul_f64 v[133:134], v[87:88], v[54:55]
	v_fma_f64 v[87:88], v[87:88], v[52:53], v[131:132]
	buffer_store_dword v52, off, s[56:59], 0 offset:192 ; 4-byte Folded Spill
	buffer_store_dword v53, off, s[56:59], 0 offset:196 ; 4-byte Folded Spill
	buffer_store_dword v54, off, s[56:59], 0 offset:200 ; 4-byte Folded Spill
	buffer_store_dword v55, off, s[56:59], 0 offset:204 ; 4-byte Folded Spill
	v_fma_f64 v[73:74], v[73:74], v[8:9], -v[137:138]
	v_mul_f64 v[137:138], v[91:92], v[50:51]
	v_fma_f64 v[91:92], v[91:92], v[48:49], v[135:136]
	buffer_store_dword v48, off, s[56:59], 0 offset:176 ; 4-byte Folded Spill
	buffer_store_dword v49, off, s[56:59], 0 offset:180 ; 4-byte Folded Spill
	buffer_store_dword v50, off, s[56:59], 0 offset:184 ; 4-byte Folded Spill
	buffer_store_dword v51, off, s[56:59], 0 offset:188 ; 4-byte Folded Spill
	v_fma_f64 v[77:78], v[77:78], v[20:21], -v[141:142]
	;; [unrolled: 7-line block ×3, first 2 shown]
	v_mul_f64 v[145:146], v[99:100], v[4:5]
	v_fma_f64 v[99:100], v[99:100], v[2:3], v[143:144]
	buffer_store_dword v2, off, s[56:59], 0 ; 4-byte Folded Spill
	buffer_store_dword v3, off, s[56:59], 0 offset:4 ; 4-byte Folded Spill
	buffer_store_dword v4, off, s[56:59], 0 offset:8 ; 4-byte Folded Spill
	;; [unrolled: 1-line block ×3, first 2 shown]
	v_fma_f64 v[85:86], v[85:86], v[40:41], -v[149:150]
	v_mul_f64 v[149:150], v[103:104], v[14:15]
	v_fma_f64 v[103:104], v[103:104], v[12:13], v[147:148]
	buffer_store_dword v12, off, s[56:59], 0 offset:32 ; 4-byte Folded Spill
	buffer_store_dword v13, off, s[56:59], 0 offset:36 ; 4-byte Folded Spill
	buffer_store_dword v14, off, s[56:59], 0 offset:40 ; 4-byte Folded Spill
	buffer_store_dword v15, off, s[56:59], 0 offset:44 ; 4-byte Folded Spill
	v_fma_f64 v[107:108], v[107:108], v[16:17], v[151:152]
	buffer_store_dword v16, off, s[56:59], 0 offset:48 ; 4-byte Folded Spill
	buffer_store_dword v17, off, s[56:59], 0 offset:52 ; 4-byte Folded Spill
	;; [unrolled: 1-line block ×24, first 2 shown]
	s_load_dwordx4 s[8:11], s[10:11], 0x0
	v_fma_f64 v[89:90], v[89:90], v[52:53], -v[133:134]
	v_fma_f64 v[93:94], v[93:94], v[48:49], -v[137:138]
	v_fma_f64 v[97:98], v[97:98], v[44:45], -v[141:142]
	v_fma_f64 v[101:102], v[101:102], v[2:3], -v[145:146]
	v_fma_f64 v[105:106], v[105:106], v[12:13], -v[149:150]
	v_fma_f64 v[109:110], v[109:110], v[16:17], -v[153:154]
	v_fma_f64 v[113:114], v[113:114], v[24:25], -v[157:158]
	v_fma_f64 v[117:118], v[117:118], v[28:29], -v[161:162]
	v_fma_f64 v[121:122], v[121:122], v[36:37], -v[165:166]
	v_fma_f64 v[125:126], v[125:126], v[56:57], -v[169:170]
	v_fma_f64 v[129:130], v[129:130], v[60:61], -v[173:174]
	ds_write_b128 v255, v[67:70]
	ds_write_b128 v255, v[71:74] offset:272
	ds_write_b128 v255, v[75:78] offset:544
	;; [unrolled: 1-line block ×15, first 2 shown]
	s_waitcnt lgkmcnt(0)
	s_waitcnt_vscnt null, 0x0
	s_barrier
	buffer_gl0_inv
	ds_read_b128 v[67:70], v255 offset:2176
	ds_read_b128 v[71:74], v255
	ds_read_b128 v[75:78], v255 offset:1088
	ds_read_b128 v[79:82], v255 offset:3264
	;; [unrolled: 1-line block ×14, first 2 shown]
	s_waitcnt lgkmcnt(0)
	s_barrier
	buffer_gl0_inv
	v_add_f64 v[67:68], v[71:72], -v[67:68]
	v_add_f64 v[69:70], v[73:74], -v[69:70]
	;; [unrolled: 1-line block ×16, first 2 shown]
	v_fma_f64 v[71:72], v[71:72], 2.0, -v[67:68]
	v_fma_f64 v[73:74], v[73:74], 2.0, -v[69:70]
	;; [unrolled: 1-line block ×3, first 2 shown]
	v_add_f64 v[131:132], v[67:68], -v[81:82]
	v_add_f64 v[79:80], v[69:70], v[79:80]
	v_fma_f64 v[77:78], v[77:78], 2.0, -v[81:82]
	v_add_f64 v[135:136], v[89:90], v[95:96]
	v_add_f64 v[133:134], v[87:88], -v[97:98]
	v_fma_f64 v[81:82], v[83:84], 2.0, -v[87:88]
	v_fma_f64 v[83:84], v[85:86], 2.0, -v[89:90]
	v_add_f64 v[139:140], v[105:106], v[111:112]
	v_add_f64 v[137:138], v[103:104], -v[113:114]
	v_fma_f64 v[85:86], v[91:92], 2.0, -v[95:96]
	v_fma_f64 v[91:92], v[93:94], 2.0, -v[97:98]
	v_add_f64 v[141:142], v[119:120], -v[129:130]
	v_add_f64 v[143:144], v[121:122], v[127:128]
	v_fma_f64 v[93:94], v[99:100], 2.0, -v[103:104]
	v_fma_f64 v[95:96], v[101:102], 2.0, -v[105:106]
	;; [unrolled: 1-line block ×8, first 2 shown]
	v_add_f64 v[75:76], v[71:72], -v[75:76]
	v_fma_f64 v[67:68], v[67:68], 2.0, -v[131:132]
	v_fma_f64 v[69:70], v[69:70], 2.0, -v[79:80]
	v_add_f64 v[77:78], v[73:74], -v[77:78]
	v_fma_f64 v[89:90], v[89:90], 2.0, -v[135:136]
	v_fma_f64 v[87:88], v[87:88], 2.0, -v[133:134]
	v_fma_f64 v[117:118], v[133:134], s[6:7], v[131:132]
	v_fma_f64 v[105:106], v[105:106], 2.0, -v[139:140]
	v_fma_f64 v[103:104], v[103:104], 2.0, -v[137:138]
	v_add_f64 v[85:86], v[81:82], -v[85:86]
	v_add_f64 v[91:92], v[83:84], -v[91:92]
	v_fma_f64 v[113:114], v[119:120], 2.0, -v[141:142]
	v_fma_f64 v[115:116], v[121:122], 2.0, -v[143:144]
	v_fma_f64 v[119:120], v[135:136], s[6:7], v[79:80]
	v_fma_f64 v[121:122], v[141:142], s[6:7], v[137:138]
	v_add_f64 v[97:98], v[93:94], -v[97:98]
	v_add_f64 v[99:100], v[95:96], -v[99:100]
	v_fma_f64 v[123:124], v[143:144], s[6:7], v[139:140]
	v_add_f64 v[109:110], v[101:102], -v[109:110]
	v_add_f64 v[111:112], v[107:108], -v[111:112]
	v_fma_f64 v[71:72], v[71:72], 2.0, -v[75:76]
	v_fma_f64 v[73:74], v[73:74], 2.0, -v[77:78]
	v_fma_f64 v[127:128], v[89:90], s[0:1], v[69:70]
	v_fma_f64 v[125:126], v[87:88], s[0:1], v[67:68]
	;; [unrolled: 1-line block ×3, first 2 shown]
	v_fma_f64 v[81:82], v[81:82], 2.0, -v[85:86]
	v_fma_f64 v[83:84], v[83:84], 2.0, -v[91:92]
	v_fma_f64 v[129:130], v[113:114], s[0:1], v[103:104]
	v_fma_f64 v[145:146], v[115:116], s[0:1], v[105:106]
	v_add_f64 v[91:92], v[75:76], -v[91:92]
	v_add_f64 v[152:153], v[77:78], v[85:86]
	v_fma_f64 v[93:94], v[93:94], 2.0, -v[97:98]
	v_fma_f64 v[95:96], v[95:96], 2.0, -v[99:100]
	v_fma_f64 v[119:120], v[133:134], s[6:7], v[119:120]
	v_fma_f64 v[85:86], v[101:102], 2.0, -v[109:110]
	v_fma_f64 v[101:102], v[107:108], 2.0, -v[111:112]
	v_add_f64 v[107:108], v[97:98], -v[111:112]
	v_add_f64 v[109:110], v[99:100], v[109:110]
	v_fma_f64 v[111:112], v[143:144], s[0:1], v[121:122]
	v_fma_f64 v[121:122], v[141:142], s[6:7], v[123:124]
	;; [unrolled: 1-line block ×4, first 2 shown]
	v_fma_f64 v[156:157], v[131:132], 2.0, -v[117:118]
	v_add_f64 v[81:82], v[71:72], -v[81:82]
	v_add_f64 v[125:126], v[73:74], -v[83:84]
	v_fma_f64 v[115:116], v[115:116], s[0:1], v[129:130]
	v_fma_f64 v[113:114], v[113:114], s[6:7], v[145:146]
	v_fma_f64 v[75:76], v[75:76], 2.0, -v[91:92]
	v_fma_f64 v[77:78], v[77:78], 2.0, -v[152:153]
	;; [unrolled: 1-line block ×3, first 2 shown]
	v_add_f64 v[83:84], v[93:94], -v[85:86]
	v_add_f64 v[85:86], v[95:96], -v[101:102]
	v_fma_f64 v[87:88], v[97:98], 2.0, -v[107:108]
	v_fma_f64 v[100:101], v[99:100], 2.0, -v[109:110]
	;; [unrolled: 1-line block ×6, first 2 shown]
	v_fma_f64 v[127:128], v[109:110], s[6:7], v[152:153]
	v_fma_f64 v[129:130], v[111:112], s[18:19], v[117:118]
	;; [unrolled: 1-line block ×3, first 2 shown]
	v_fma_f64 v[71:72], v[71:72], 2.0, -v[81:82]
	v_fma_f64 v[73:74], v[73:74], 2.0, -v[125:126]
	;; [unrolled: 1-line block ×4, first 2 shown]
	v_fma_f64 v[104:105], v[107:108], s[6:7], v[91:92]
	v_fma_f64 v[158:159], v[115:116], s[16:17], v[89:90]
	;; [unrolled: 1-line block ×3, first 2 shown]
	v_fma_f64 v[93:94], v[93:94], 2.0, -v[83:84]
	v_fma_f64 v[140:141], v[95:96], 2.0, -v[85:86]
	v_fma_f64 v[142:143], v[87:88], s[0:1], v[75:76]
	v_fma_f64 v[148:149], v[100:101], s[0:1], v[77:78]
	;; [unrolled: 1-line block ×4, first 2 shown]
	v_add_f64 v[96:97], v[81:82], -v[85:86]
	v_add_f64 v[98:99], v[125:126], v[83:84]
	v_fma_f64 v[146:147], v[107:108], s[6:7], v[127:128]
	v_fma_f64 v[172:173], v[121:122], s[14:15], v[129:130]
	;; [unrolled: 1-line block ×8, first 2 shown]
	v_add_f64 v[128:129], v[71:72], -v[93:94]
	v_add_f64 v[130:131], v[73:74], -v[140:141]
	v_fma_f64 v[140:141], v[100:101], s[0:1], v[142:143]
	v_fma_f64 v[142:143], v[87:88], s[6:7], v[148:149]
	;; [unrolled: 1-line block ×4, first 2 shown]
	v_fma_f64 v[148:149], v[81:82], 2.0, -v[96:97]
	v_fma_f64 v[150:151], v[125:126], 2.0, -v[98:99]
	;; [unrolled: 1-line block ×4, first 2 shown]
	v_fma_f64 v[136:137], v[136:137], s[14:15], v[162:163]
	v_fma_f64 v[138:139], v[102:103], s[16:17], v[164:165]
	v_fma_f64 v[164:165], v[91:92], 2.0, -v[144:145]
	v_fma_f64 v[102:103], v[119:120], 2.0, -v[174:175]
	;; [unrolled: 1-line block ×12, first 2 shown]
	ds_write_b128 v219, v[96:99] offset:192
	ds_write_b128 v219, v[144:147] offset:224
	ds_write_b128 v219, v[172:175] offset:240
	ds_write_b128 v219, v[148:151] offset:64
	ds_write_b128 v219, v[164:167] offset:96
	ds_write_b128 v219, v[100:103] offset:112
	ds_write_b128 v219, v[128:131] offset:128
	ds_write_b128 v219, v[140:143] offset:160
	ds_write_b128 v219, v[84:87] offset:176
	ds_write_b128 v219, v[104:107] offset:208
	ds_write_b128 v219, v[132:135]
	ds_write_b128 v219, v[152:155] offset:32
	ds_write_b128 v219, v[160:163] offset:48
	;; [unrolled: 1-line block ×5, first 2 shown]
	s_waitcnt lgkmcnt(0)
	s_barrier
	buffer_gl0_inv
	s_and_saveexec_b32 s0, vcc_lo
	s_cbranch_execz .LBB0_3
; %bb.2:
	ds_read_b128 v[132:135], v220
	ds_read_b128 v[156:159], v220 offset:256
	ds_read_b128 v[152:155], v220 offset:512
	;; [unrolled: 1-line block ×16, first 2 shown]
.LBB0_3:
	s_or_b32 exec_lo, exec_lo, s0
	v_and_b32_e32 v0, 0xf0, v64
	s_mov_b32 s0, 0x370991
	s_mov_b32 s12, 0x2a9d6da3
	s_mov_b32 s1, 0x3fedd6d0
	s_mov_b32 s13, 0xbfe58eea
	v_lshlrev_b32_e32 v180, 4, v0
	s_mov_b32 s6, 0x75d4884
	s_mov_b32 s7, 0x3fe7a5f6
	;; [unrolled: 1-line block ×4, first 2 shown]
	s_clause 0xb
	global_load_dwordx4 v[0:3], v180, s[2:3]
	global_load_dwordx4 v[124:127], v180, s[2:3] offset:240
	global_load_dwordx4 v[116:119], v180, s[2:3] offset:16
	;; [unrolled: 1-line block ×11, first 2 shown]
	s_mov_b32 s14, 0x2b2883cd
	s_mov_b32 s15, 0x3fdc86fa
	s_mov_b32 s24, 0x923c349f
	s_mov_b32 s25, 0xbfeec746
	s_mov_b32 s34, 0xeb564b22
	s_mov_b32 s35, 0xbfefdd0d
	s_mov_b32 s18, 0x3259b75e
	s_mov_b32 s19, 0x3fb79ee6
	s_mov_b32 s38, 0xacd6c6b4
	s_mov_b32 s39, 0xbfc7851a
	s_mov_b32 s20, 0xc61f0d01
	s_mov_b32 s21, 0xbfd183b1
	s_mov_b32 s26, 0x6c9a05f6
	s_mov_b32 s27, 0xbfe9895b
	s_mov_b32 s22, 0x6ed5f1bb
	s_mov_b32 s23, 0xbfe348c8
	s_mov_b32 s30, 0x4363dd80
	s_mov_b32 s31, 0xbfe0d888
	s_mov_b32 s28, 0x910ea3b9
	s_mov_b32 s29, 0xbfeb34fa
	s_mov_b32 s36, 0x7faef3
	s_mov_b32 s37, 0xbfef7484
	s_waitcnt vmcnt(11) lgkmcnt(15)
	v_mul_f64 v[181:182], v[158:159], v[2:3]
	v_mul_f64 v[183:184], v[156:157], v[2:3]
	s_waitcnt vmcnt(10) lgkmcnt(0)
	v_mul_f64 v[185:186], v[176:177], v[126:127]
	v_fma_f64 v[190:191], v[156:157], v[0:1], -v[181:182]
	buffer_store_dword v0, off, s[56:59], 0 offset:280 ; 4-byte Folded Spill
	buffer_store_dword v1, off, s[56:59], 0 offset:284 ; 4-byte Folded Spill
	;; [unrolled: 1-line block ×4, first 2 shown]
	v_mul_f64 v[156:157], v[178:179], v[126:127]
	v_fma_f64 v[24:25], v[178:179], v[124:125], v[185:186]
	v_fma_f64 v[22:23], v[176:177], v[124:125], -v[156:157]
	s_waitcnt vmcnt(9)
	v_mul_f64 v[156:157], v[152:153], v[118:119]
	s_waitcnt vmcnt(8)
	v_mul_f64 v[176:177], v[172:173], v[122:123]
	v_fma_f64 v[40:41], v[154:155], v[116:117], v[156:157]
	s_waitcnt vmcnt(6)
	v_mul_f64 v[156:157], v[146:147], v[114:115]
	v_fma_f64 v[28:29], v[174:175], v[120:121], v[176:177]
	v_fma_f64 v[30:31], v[144:145], v[112:113], -v[156:157]
	v_add_f64 v[20:21], v[40:41], -v[28:29]
	v_mul_f64 v[8:9], v[20:21], s[12:13]
	v_fma_f64 v[217:218], v[158:159], v[0:1], v[183:184]
	v_mul_f64 v[158:159], v[154:155], v[118:119]
	v_mul_f64 v[154:155], v[162:163], v[110:111]
	v_add_f64 v[184:185], v[40:41], v[28:29]
	v_fma_f64 v[36:37], v[152:153], v[116:117], -v[158:159]
	v_mul_f64 v[152:153], v[174:175], v[122:123]
	v_fma_f64 v[42:43], v[160:161], v[108:109], -v[154:155]
	s_waitcnt vmcnt(5)
	v_mul_f64 v[154:155], v[150:151], v[90:91]
	v_fma_f64 v[26:27], v[172:173], v[120:121], -v[152:153]
	v_mul_f64 v[152:153], v[160:161], v[110:111]
	v_fma_f64 v[50:51], v[148:149], v[88:89], -v[154:155]
	v_add_f64 v[82:83], v[36:37], -v[26:27]
	v_fma_f64 v[44:45], v[162:163], v[108:109], v[152:153]
	v_mul_f64 v[152:153], v[144:145], v[114:115]
	v_mul_f64 v[144:145], v[148:149], v[90:91]
	s_waitcnt vmcnt(3)
	v_mul_f64 v[148:149], v[170:171], v[70:71]
	v_mul_f64 v[10:11], v[82:83], s[12:13]
	v_fma_f64 v[32:33], v[146:147], v[112:113], v[152:153]
	v_mul_f64 v[146:147], v[106:107], v[94:95]
	v_fma_f64 v[52:53], v[150:151], v[88:89], v[144:145]
	v_mul_f64 v[144:145], v[104:105], v[94:95]
	v_fma_f64 v[54:55], v[168:169], v[68:69], -v[148:149]
	v_add_f64 v[148:149], v[36:37], v[26:27]
	v_fma_f64 v[152:153], v[184:185], s[6:7], -v[10:11]
	v_add_f64 v[12:13], v[44:45], -v[32:33]
	v_fma_f64 v[34:35], v[104:105], v[92:93], -v[146:147]
	v_mul_f64 v[104:105], v[168:169], v[70:71]
	v_fma_f64 v[38:39], v[106:107], v[92:93], v[144:145]
	s_waitcnt vmcnt(2)
	v_mul_f64 v[106:107], v[98:99], v[78:79]
	s_waitcnt vmcnt(1)
	v_mul_f64 v[144:145], v[166:167], v[251:252]
	v_add_f64 v[188:189], v[44:45], v[32:33]
	v_mul_f64 v[146:147], v[12:13], s[16:17]
	v_fma_f64 v[58:59], v[170:171], v[68:69], v[104:105]
	v_mul_f64 v[104:105], v[96:97], v[78:79]
	v_fma_f64 v[46:47], v[96:97], v[76:77], -v[106:107]
	v_mul_f64 v[96:97], v[164:165], v[251:252]
	v_fma_f64 v[62:63], v[164:165], v[249:250], -v[144:145]
	v_add_f64 v[192:193], v[52:53], v[38:39]
	v_fma_f64 v[48:49], v[98:99], v[76:77], v[104:105]
	s_waitcnt vmcnt(0)
	v_mul_f64 v[98:99], v[86:87], v[74:75]
	v_fma_f64 v[64:65], v[166:167], v[249:250], v[96:97]
	v_mul_f64 v[96:97], v[84:85], v[74:75]
	v_add_f64 v[170:171], v[54:55], -v[46:47]
	v_add_f64 v[16:17], v[58:59], -v[48:49]
	v_fma_f64 v[56:57], v[84:85], v[72:73], -v[98:99]
	v_add_f64 v[199:200], v[58:59], v[48:49]
	v_fma_f64 v[60:61], v[86:87], v[72:73], v[96:97]
	s_clause 0x1
	global_load_dwordx4 v[84:87], v180, s[2:3] offset:96
	global_load_dwordx4 v[96:99], v180, s[2:3] offset:112
	v_mul_f64 v[223:224], v[170:171], s[24:25]
	v_add_f64 v[174:175], v[62:63], -v[56:57]
	v_add_f64 v[66:67], v[64:65], -v[60:61]
	v_add_f64 v[203:204], v[64:65], v[60:61]
	v_mul_f64 v[209:210], v[174:175], s[26:27]
	v_mul_f64 v[201:202], v[66:67], s[26:27]
	s_waitcnt vmcnt(1)
	v_mul_f64 v[104:105], v[102:103], v[86:87]
	v_fma_f64 v[176:177], v[100:101], v[84:85], -v[104:105]
	v_mul_f64 v[100:101], v[100:101], v[86:87]
	v_fma_f64 v[178:179], v[102:103], v[84:85], v[100:101]
	s_clause 0x1
	global_load_dwordx4 v[100:103], v180, s[2:3] offset:144
	global_load_dwordx4 v[244:247], v180, s[2:3] offset:128
	s_mov_b32 s2, 0x5d8e7cdc
	s_mov_b32 s3, 0xbfd71e95
	s_waitcnt vmcnt(1)
	v_mul_f64 v[144:145], v[142:143], v[102:103]
	v_fma_f64 v[182:183], v[140:141], v[100:101], -v[144:145]
	v_mul_f64 v[140:141], v[140:141], v[102:103]
	v_add_f64 v[144:145], v[190:191], -v[22:23]
	v_add_f64 v[168:169], v[176:177], v[182:183]
	v_fma_f64 v[186:187], v[142:143], v[100:101], v[140:141]
	v_mul_f64 v[140:141], v[130:131], v[98:99]
	v_add_f64 v[142:143], v[217:218], v[24:25]
	v_mul_f64 v[215:216], v[144:145], s[2:3]
	v_add_f64 v[172:173], v[176:177], -v[182:183]
	v_add_f64 v[180:181], v[178:179], -v[186:187]
	v_fma_f64 v[0:1], v[128:129], v[96:97], -v[140:141]
	v_mul_f64 v[128:129], v[128:129], v[98:99]
	v_add_f64 v[140:141], v[217:218], -v[24:25]
	v_add_f64 v[207:208], v[178:179], v[186:187]
	v_mul_f64 v[211:212], v[172:173], s[30:31]
	v_mul_f64 v[80:81], v[180:181], s[30:31]
	v_fma_f64 v[4:5], v[130:131], v[96:97], v[128:129]
	s_waitcnt vmcnt(0)
	v_mul_f64 v[128:129], v[138:139], v[246:247]
	v_mul_f64 v[213:214], v[140:141], s[2:3]
	v_fma_f64 v[130:131], v[148:149], s[6:7], v[8:9]
	v_fma_f64 v[2:3], v[136:137], v[244:245], -v[128:129]
	v_mul_f64 v[128:129], v[136:137], v[246:247]
	v_add_f64 v[136:137], v[190:191], v[22:23]
	v_fma_f64 v[6:7], v[138:139], v[244:245], v[128:129]
	v_fma_f64 v[128:129], v[136:137], s[0:1], v[213:214]
	v_add_f64 v[128:129], v[132:133], v[128:129]
	v_add_f64 v[128:129], v[130:131], v[128:129]
	v_fma_f64 v[130:131], v[142:143], s[0:1], -v[215:216]
	v_add_f64 v[130:131], v[134:135], v[130:131]
	v_add_f64 v[130:131], v[152:153], v[130:131]
	v_add_f64 v[152:153], v[42:43], v[30:31]
	v_fma_f64 v[154:155], v[152:153], s[14:15], v[146:147]
	v_add_f64 v[128:129], v[154:155], v[128:129]
	v_add_f64 v[154:155], v[42:43], -v[30:31]
	v_mul_f64 v[14:15], v[154:155], s[16:17]
	buffer_store_dword v14, off, s[56:59], 0 offset:296 ; 4-byte Folded Spill
	buffer_store_dword v15, off, s[56:59], 0 offset:300 ; 4-byte Folded Spill
	;; [unrolled: 1-line block ×4, first 2 shown]
	v_fma_f64 v[156:157], v[188:189], s[14:15], -v[14:15]
	v_mul_f64 v[150:151], v[16:17], s[24:25]
	v_add_f64 v[16:17], v[4:5], -v[6:7]
	buffer_store_dword v16, off, s[56:59], 0 offset:264 ; 4-byte Folded Spill
	buffer_store_dword v17, off, s[56:59], 0 offset:268 ; 4-byte Folded Spill
	v_add_f64 v[14:15], v[52:53], -v[38:39]
	v_add_f64 v[130:131], v[156:157], v[130:131]
	v_add_f64 v[156:157], v[50:51], v[34:35]
	v_mul_f64 v[197:198], v[14:15], s[34:35]
	v_fma_f64 v[158:159], v[156:157], s[18:19], v[197:198]
	v_add_f64 v[128:129], v[158:159], v[128:129]
	v_add_f64 v[158:159], v[50:51], -v[34:35]
	v_mul_f64 v[194:195], v[158:159], s[34:35]
	v_fma_f64 v[160:161], v[192:193], s[18:19], -v[194:195]
	v_add_f64 v[130:131], v[160:161], v[130:131]
	v_add_f64 v[160:161], v[54:55], v[46:47]
	v_fma_f64 v[162:163], v[160:161], s[20:21], v[150:151]
	v_add_f64 v[128:129], v[162:163], v[128:129]
	v_fma_f64 v[162:163], v[199:200], s[20:21], -v[223:224]
	v_add_f64 v[130:131], v[162:163], v[130:131]
	v_add_f64 v[162:163], v[62:63], v[56:57]
	v_fma_f64 v[164:165], v[162:163], s[22:23], v[201:202]
	v_add_f64 v[128:129], v[164:165], v[128:129]
	v_fma_f64 v[164:165], v[203:204], s[22:23], -v[209:210]
	v_add_f64 v[130:131], v[164:165], v[130:131]
	v_fma_f64 v[164:165], v[168:169], s[28:29], v[80:81]
	v_add_f64 v[128:129], v[164:165], v[128:129]
	v_fma_f64 v[164:165], v[207:208], s[28:29], -v[211:212]
	v_add_f64 v[130:131], v[164:165], v[130:131]
	v_add_f64 v[164:165], v[0:1], v[2:3]
	v_mul_f64 v[18:19], v[16:17], s[38:39]
	v_add_f64 v[16:17], v[4:5], v[6:7]
	buffer_store_dword v16, off, s[56:59], 0 offset:272 ; 4-byte Folded Spill
	buffer_store_dword v17, off, s[56:59], 0 offset:276 ; 4-byte Folded Spill
	v_fma_f64 v[166:167], v[164:165], s[36:37], v[18:19]
	v_add_f64 v[104:105], v[166:167], v[128:129]
	v_add_f64 v[166:167], v[0:1], -v[2:3]
	v_mul_f64 v[128:129], v[166:167], s[38:39]
	v_fma_f64 v[138:139], v[16:17], s[36:37], -v[128:129]
	v_add_f64 v[106:107], v[138:139], v[130:131]
	s_and_saveexec_b32 s33, vcc_lo
	s_cbranch_execz .LBB0_5
; %bb.4:
	v_mul_f64 v[227:228], v[142:143], s[22:23]
	s_mov_b32 s43, 0x3fe9895b
	s_mov_b32 s42, s26
	buffer_store_dword v18, off, s[56:59], 0 offset:512 ; 4-byte Folded Spill
	buffer_store_dword v19, off, s[56:59], 0 offset:516 ; 4-byte Folded Spill
	;; [unrolled: 1-line block ×22, first 2 shown]
	v_mov_b32_e32 v103, v87
	v_mov_b32_e32 v102, v86
	;; [unrolled: 1-line block ×8, first 2 shown]
	v_mul_f64 v[249:250], v[140:141], s[26:27]
	v_mov_b32_e32 v130, v213
	v_mov_b32_e32 v131, v214
	;; [unrolled: 1-line block ×8, first 2 shown]
	v_fma_f64 v[229:230], v[144:145], s[42:43], v[227:228]
	v_mov_b32_e32 v181, v65
	v_mov_b32_e32 v180, v64
	buffer_store_dword v253, off, s[56:59], 0 offset:312 ; 4-byte Folded Spill
	buffer_store_dword v68, off, s[56:59], 0 offset:320 ; 4-byte Folded Spill
	;; [unrolled: 1-line block ×6, first 2 shown]
	v_fma_f64 v[227:228], v[144:145], s[26:27], v[227:228]
	v_mul_f64 v[231:232], v[142:143], s[20:21]
	s_mov_b32 s55, 0x3feec746
	s_mov_b32 s54, s24
	v_mul_f64 v[251:252], v[140:141], s[24:25]
	v_mov_b32_e32 v95, v75
	v_mov_b32_e32 v94, v74
	;; [unrolled: 1-line block ×3, first 2 shown]
	v_fma_f64 v[205:206], v[136:137], s[22:23], v[249:250]
	v_fma_f64 v[249:250], v[136:137], s[22:23], -v[249:250]
	v_mov_b32_e32 v92, v72
	v_mov_b32_e32 v72, v207
	;; [unrolled: 1-line block ×3, first 2 shown]
	v_mul_f64 v[235:236], v[142:143], s[18:19]
	s_mov_b32 s49, 0x3fefdd0d
	s_mov_b32 s48, s34
	v_mul_f64 v[253:254], v[140:141], s[34:35]
	v_add_f64 v[64:65], v[134:135], v[229:230]
	v_mov_b32_e32 v16, v209
	v_mov_b32_e32 v17, v210
	v_mul_f64 v[239:240], v[142:143], s[14:15]
	v_mov_b32_e32 v96, v124
	v_mov_b32_e32 v97, v125
	v_fma_f64 v[233:234], v[144:145], s[54:55], v[231:232]
	v_mov_b32_e32 v98, v126
	v_mov_b32_e32 v99, v127
	v_fma_f64 v[207:208], v[136:137], s[20:21], v[251:252]
	v_mov_b32_e32 v125, v123
	v_mov_b32_e32 v124, v122
	v_mov_b32_e32 v123, v121
	v_mov_b32_e32 v122, v120
	v_mov_b32_e32 v121, v119
	v_mov_b32_e32 v126, v211
	s_mov_b32 s45, 0x3feca52d
	s_mov_b32 s44, s16
	v_fma_f64 v[237:238], v[144:145], s[34:35], v[235:236]
	v_fma_f64 v[235:236], v[144:145], s[48:49], v[235:236]
	v_mov_b32_e32 v120, v118
	v_fma_f64 v[209:210], v[136:137], s[18:19], v[253:254]
	buffer_store_dword v64, off, s[56:59], 0 offset:488 ; 4-byte Folded Spill
	buffer_store_dword v65, off, s[56:59], 0 offset:492 ; 4-byte Folded Spill
	v_add_f64 v[64:65], v[132:133], v[205:206]
	v_mov_b32_e32 v119, v117
	v_mov_b32_e32 v118, v116
	;; [unrolled: 1-line block ×11, first 2 shown]
	v_fma_f64 v[241:242], v[144:145], s[44:45], v[239:240]
	v_mov_b32_e32 v112, v110
	v_mov_b32_e32 v111, v109
	;; [unrolled: 1-line block ×6, first 2 shown]
	v_mul_f64 v[138:139], v[142:143], s[36:37]
	v_mul_f64 v[221:222], v[142:143], s[28:29]
	v_mov_b32_e32 v107, v245
	buffer_store_dword v64, off, s[56:59], 0 offset:480 ; 4-byte Folded Spill
	buffer_store_dword v65, off, s[56:59], 0 offset:484 ; 4-byte Folded Spill
	v_add_f64 v[64:65], v[134:135], v[227:228]
	v_mov_b32_e32 v108, v246
	v_mov_b32_e32 v109, v247
	v_mul_f64 v[243:244], v[142:143], s[6:7]
	v_mul_f64 v[142:143], v[142:143], s[0:1]
	v_mov_b32_e32 v21, v198
	v_mul_f64 v[197:198], v[140:141], s[16:17]
	s_mov_b32 s51, 0x3fc7851a
	s_mov_b32 s50, s38
	;; [unrolled: 1-line block ×6, first 2 shown]
	v_mov_b32_e32 v18, v146
	v_mov_b32_e32 v19, v147
	v_fma_f64 v[231:232], v[144:145], s[24:25], v[231:232]
	v_fma_f64 v[239:240], v[144:145], s[16:17], v[239:240]
	v_mul_f64 v[247:248], v[140:141], s[30:31]
	v_fma_f64 v[146:147], v[144:145], s[50:51], v[138:139]
	v_fma_f64 v[138:139], v[144:145], s[38:39], v[138:139]
	;; [unrolled: 1-line block ×4, first 2 shown]
	buffer_store_dword v64, off, s[56:59], 0 offset:504 ; 4-byte Folded Spill
	buffer_store_dword v65, off, s[56:59], 0 offset:508 ; 4-byte Folded Spill
	v_add_f64 v[64:65], v[132:133], v[249:250]
	v_mov_b32_e32 v75, v1
	v_fma_f64 v[245:246], v[144:145], s[46:47], v[243:244]
	v_add_f64 v[142:143], v[215:216], v[142:143]
	v_fma_f64 v[144:145], v[144:145], s[12:13], v[243:244]
	v_fma_f64 v[215:216], v[136:137], s[14:15], v[197:198]
	v_mul_f64 v[243:244], v[140:141], s[38:39]
	v_mul_f64 v[140:141], v[140:141], s[12:13]
	v_mov_b32_e32 v74, v0
	v_mov_b32_e32 v91, v79
	;; [unrolled: 1-line block ×12, first 2 shown]
	v_fma_f64 v[203:204], v[136:137], s[28:29], v[247:248]
	v_fma_f64 v[247:248], v[136:137], s[28:29], -v[247:248]
	buffer_store_dword v64, off, s[56:59], 0 offset:496 ; 4-byte Folded Spill
	buffer_store_dword v65, off, s[56:59], 0 offset:500 ; 4-byte Folded Spill
	v_add_f64 v[64:65], v[134:135], v[233:234]
	v_fma_f64 v[251:252], v[136:137], s[20:21], -v[251:252]
	v_fma_f64 v[253:254], v[136:137], s[18:19], -v[253:254]
	;; [unrolled: 1-line block ×3, first 2 shown]
	v_mov_b32_e32 v76, v2
	v_fma_f64 v[199:200], v[136:137], s[36:37], v[243:244]
	v_fma_f64 v[0:1], v[136:137], s[6:7], v[140:141]
	v_fma_f64 v[243:244], v[136:137], s[36:37], -v[243:244]
	v_fma_f64 v[2:3], v[136:137], s[6:7], -v[140:141]
	v_mul_f64 v[136:137], v[136:137], s[0:1]
	v_mov_b32_e32 v228, v11
	v_mov_b32_e32 v227, v10
	v_mul_f64 v[10:11], v[184:185], s[0:1]
	v_mov_b32_e32 v206, v9
	v_add_f64 v[140:141], v[134:135], v[146:147]
	v_mov_b32_e32 v205, v8
	s_mov_b32 s53, 0x3fd71e95
	s_mov_b32 s52, s2
	v_add_f64 v[138:139], v[134:135], v[138:139]
	v_add_f64 v[203:204], v[132:133], v[203:204]
	;; [unrolled: 1-line block ×4, first 2 shown]
	buffer_store_dword v64, off, s[56:59], 0 offset:472 ; 4-byte Folded Spill
	buffer_store_dword v65, off, s[56:59], 0 offset:476 ; 4-byte Folded Spill
	v_add_f64 v[64:65], v[132:133], v[207:208]
	v_add_f64 v[249:250], v[132:133], v[251:252]
	;; [unrolled: 1-line block ×8, first 2 shown]
	v_add_f64 v[136:137], v[136:137], -v[130:131]
	v_mov_b32_e32 v131, v5
	v_mov_b32_e32 v130, v4
	v_add_f64 v[4:5], v[134:135], v[217:218]
	v_mov_b32_e32 v218, v7
	v_mov_b32_e32 v217, v6
	v_add_f64 v[6:7], v[132:133], v[190:191]
	v_add_f64 v[2:3], v[132:133], v[2:3]
	;; [unrolled: 1-line block ×4, first 2 shown]
	v_mov_b32_e32 v69, v13
	v_mov_b32_e32 v68, v12
	;; [unrolled: 1-line block ×4, first 2 shown]
	buffer_store_dword v64, off, s[56:59], 0 offset:464 ; 4-byte Folded Spill
	buffer_store_dword v65, off, s[56:59], 0 offset:468 ; 4-byte Folded Spill
	v_add_f64 v[64:65], v[134:135], v[235:236]
	v_mov_b32_e32 v195, v15
	v_mov_b32_e32 v194, v14
	buffer_store_dword v64, off, s[56:59], 0 offset:456 ; 4-byte Folded Spill
	buffer_store_dword v65, off, s[56:59], 0 offset:460 ; 4-byte Folded Spill
	v_add_f64 v[64:65], v[132:133], v[209:210]
	v_add_f64 v[8:9], v[132:133], v[136:137]
	v_mul_f64 v[136:137], v[66:67], s[52:53]
	v_add_f64 v[4:5], v[4:5], v[40:41]
	v_add_f64 v[6:7], v[6:7], v[36:37]
	buffer_store_dword v64, off, s[56:59], 0 offset:448 ; 4-byte Folded Spill
	buffer_store_dword v65, off, s[56:59], 0 offset:452 ; 4-byte Folded Spill
	v_add_f64 v[64:65], v[134:135], v[241:242]
	v_add_f64 v[241:242], v[132:133], v[197:198]
	;; [unrolled: 1-line block ×4, first 2 shown]
	v_mul_f64 v[42:43], v[188:189], s[20:21]
	buffer_store_dword v64, off, s[56:59], 0 offset:440 ; 4-byte Folded Spill
	buffer_store_dword v65, off, s[56:59], 0 offset:444 ; 4-byte Folded Spill
	v_add_f64 v[64:65], v[132:133], v[215:216]
	v_fma_f64 v[132:133], v[82:83], s[2:3], v[10:11]
	v_fma_f64 v[10:11], v[82:83], s[52:53], v[10:11]
	v_add_f64 v[4:5], v[4:5], v[52:53]
	v_add_f64 v[6:7], v[6:7], v[50:51]
	buffer_store_dword v64, off, s[56:59], 0 offset:432 ; 4-byte Folded Spill
	buffer_store_dword v65, off, s[56:59], 0 offset:436 ; 4-byte Folded Spill
	v_add_f64 v[64:65], v[134:135], v[245:246]
	v_add_f64 v[132:133], v[132:133], v[140:141]
	v_mul_f64 v[140:141], v[188:189], s[28:29]
	v_add_f64 v[245:246], v[134:135], v[142:143]
	v_add_f64 v[10:11], v[10:11], v[138:139]
	;; [unrolled: 1-line block ×4, first 2 shown]
	buffer_store_dword v64, off, s[56:59], 0 offset:424 ; 4-byte Folded Spill
	buffer_store_dword v65, off, s[56:59], 0 offset:428 ; 4-byte Folded Spill
	;; [unrolled: 1-line block ×4, first 2 shown]
	s_clause 0x1
	buffer_load_dword v190, off, s[56:59], 0 offset:304
	buffer_load_dword v191, off, s[56:59], 0 offset:308
	v_fma_f64 v[142:143], v[154:155], s[40:41], v[140:141]
	v_add_f64 v[0:1], v[134:135], v[144:145]
	v_fma_f64 v[134:135], v[148:149], s[0:1], v[136:137]
	s_clause 0x3
	buffer_load_dword v64, off, s[56:59], 0 offset:272
	buffer_load_dword v65, off, s[56:59], 0 offset:276
	;; [unrolled: 1-line block ×4, first 2 shown]
	v_fma_f64 v[136:137], v[148:149], s[0:1], -v[136:137]
	v_fma_f64 v[138:139], v[154:155], s[30:31], v[140:141]
	v_add_f64 v[4:5], v[4:5], v[180:181]
	v_add_f64 v[6:7], v[6:7], v[62:63]
	v_mul_f64 v[62:63], v[66:67], s[40:41]
	v_mul_f64 v[180:181], v[66:67], s[54:55]
	v_add_f64 v[132:133], v[142:143], v[132:133]
	v_mul_f64 v[142:143], v[12:13], s[30:31]
	v_add_f64 v[134:135], v[134:135], v[146:147]
	v_add_f64 v[136:137], v[136:137], v[199:200]
	;; [unrolled: 1-line block ×3, first 2 shown]
	v_mul_f64 v[199:200], v[194:195], s[42:43]
	v_add_f64 v[4:5], v[4:5], v[178:179]
	v_add_f64 v[6:7], v[6:7], v[176:177]
	v_mul_f64 v[178:179], v[66:67], s[26:27]
	v_fma_f64 v[144:145], v[152:153], s[28:29], v[142:143]
	v_fma_f64 v[138:139], v[152:153], s[28:29], -v[142:143]
	v_add_f64 v[4:5], v[4:5], v[130:131]
	v_add_f64 v[6:7], v[6:7], v[74:75]
	v_add_f64 v[134:135], v[144:145], v[134:135]
	v_mul_f64 v[144:145], v[192:193], s[6:7]
	v_add_f64 v[136:137], v[138:139], v[136:137]
	v_add_f64 v[4:5], v[4:5], v[217:218]
	;; [unrolled: 1-line block ×3, first 2 shown]
	v_fma_f64 v[146:147], v[158:159], s[12:13], v[144:145]
	v_fma_f64 v[138:139], v[158:159], s[46:47], v[144:145]
	v_mul_f64 v[144:145], v[188:189], s[18:19]
	v_add_f64 v[4:5], v[4:5], v[186:187]
	v_add_f64 v[6:7], v[6:7], v[182:183]
	v_fma_f64 v[182:183], v[148:149], s[20:21], -v[180:181]
	v_fma_f64 v[180:181], v[148:149], s[20:21], v[180:181]
	v_add_f64 v[132:133], v[146:147], v[132:133]
	v_mul_f64 v[146:147], v[14:15], s[46:47]
	v_add_f64 v[10:11], v[138:139], v[10:11]
	v_fma_f64 v[142:143], v[154:155], s[48:49], v[144:145]
	v_fma_f64 v[144:145], v[154:155], s[34:35], v[144:145]
	v_add_f64 v[4:5], v[4:5], v[60:61]
	v_add_f64 v[6:7], v[6:7], v[56:57]
	v_fma_f64 v[197:198], v[156:157], s[6:7], v[146:147]
	v_fma_f64 v[138:139], v[156:157], s[6:7], -v[146:147]
	v_mul_f64 v[146:147], v[68:69], s[34:35]
	v_add_f64 v[4:5], v[4:5], v[48:49]
	v_add_f64 v[6:7], v[6:7], v[46:47]
	v_mul_f64 v[46:47], v[192:193], s[0:1]
	v_add_f64 v[134:135], v[197:198], v[134:135]
	v_mul_f64 v[197:198], v[78:79], s[22:23]
	v_add_f64 v[136:137], v[138:139], v[136:137]
	v_add_f64 v[4:5], v[4:5], v[38:39]
	;; [unrolled: 1-line block ×3, first 2 shown]
	v_fma_f64 v[215:216], v[170:171], s[42:43], v[197:198]
	v_fma_f64 v[138:139], v[170:171], s[26:27], v[197:198]
	v_mul_f64 v[197:198], v[192:193], s[22:23]
	v_add_f64 v[4:5], v[4:5], v[32:33]
	v_add_f64 v[6:7], v[6:7], v[30:31]
	;; [unrolled: 1-line block ×6, first 2 shown]
	s_waitcnt vmcnt(4)
	v_mul_f64 v[215:216], v[190:191], s[26:27]
	s_waitcnt vmcnt(2)
	v_mul_f64 v[12:13], v[64:65], s[18:19]
	s_waitcnt vmcnt(0)
	v_mov_b32_e32 v130, v229
	v_mov_b32_e32 v131, v230
	v_fma_f64 v[209:210], v[160:161], s[22:23], v[215:216]
	v_fma_f64 v[138:139], v[160:161], s[22:23], -v[215:216]
	v_mul_f64 v[215:216], v[211:212], s[38:39]
	v_fma_f64 v[14:15], v[166:167], s[34:35], v[12:13]
	v_fma_f64 v[12:13], v[166:167], s[48:49], v[12:13]
	v_add_f64 v[134:135], v[209:210], v[134:135]
	v_mul_f64 v[209:210], v[80:81], s[14:15]
	v_add_f64 v[136:137], v[138:139], v[136:137]
	v_fma_f64 v[251:252], v[174:175], s[16:17], v[209:210]
	v_fma_f64 v[138:139], v[174:175], s[44:45], v[209:210]
	v_mul_f64 v[209:210], v[80:81], s[36:37]
	v_add_f64 v[132:133], v[251:252], v[132:133]
	v_mul_f64 v[251:252], v[211:212], s[44:45]
	v_add_f64 v[10:11], v[138:139], v[10:11]
	v_fma_f64 v[235:236], v[162:163], s[14:15], v[251:252]
	v_fma_f64 v[138:139], v[162:163], s[14:15], -v[251:252]
	v_add_f64 v[134:135], v[235:236], v[134:135]
	v_mul_f64 v[235:236], v[72:73], s[20:21]
	v_add_f64 v[136:137], v[138:139], v[136:137]
	v_fma_f64 v[207:208], v[172:173], s[54:55], v[235:236]
	v_fma_f64 v[138:139], v[172:173], s[24:25], v[235:236]
	v_mul_f64 v[235:236], v[64:65], s[20:21]
	v_add_f64 v[132:133], v[207:208], v[132:133]
	v_mul_f64 v[207:208], v[150:151], s[24:25]
	v_add_f64 v[10:11], v[138:139], v[10:11]
	v_fma_f64 v[233:234], v[168:169], s[20:21], v[207:208]
	v_fma_f64 v[138:139], v[168:169], s[20:21], -v[207:208]
	v_mul_f64 v[207:208], v[190:191], s[2:3]
	v_add_f64 v[233:234], v[233:234], v[134:135]
	v_add_f64 v[134:135], v[14:15], v[132:133]
	v_mul_f64 v[14:15], v[229:230], s[48:49]
	v_add_f64 v[136:137], v[138:139], v[136:137]
	v_add_f64 v[138:139], v[12:13], v[10:11]
	v_mul_f64 v[10:11], v[184:185], s[14:15]
	v_fma_f64 v[132:133], v[164:165], s[18:19], v[14:15]
	v_fma_f64 v[14:15], v[164:165], s[18:19], -v[14:15]
	v_fma_f64 v[12:13], v[82:83], s[16:17], v[10:11]
	v_fma_f64 v[10:11], v[82:83], s[44:45], v[10:11]
	v_add_f64 v[132:133], v[132:133], v[233:234]
	v_add_f64 v[136:137], v[14:15], v[136:137]
	v_mul_f64 v[14:15], v[66:67], s[44:45]
	v_add_f64 v[12:13], v[12:13], v[225:226]
	v_add_f64 v[10:11], v[10:11], v[221:222]
	v_mul_f64 v[225:226], v[72:73], s[6:7]
	v_mul_f64 v[233:234], v[150:151], s[46:47]
	;; [unrolled: 1-line block ×3, first 2 shown]
	v_fma_f64 v[140:141], v[148:149], s[14:15], v[14:15]
	v_add_f64 v[12:13], v[142:143], v[12:13]
	v_fma_f64 v[142:143], v[152:153], s[18:19], v[146:147]
	v_fma_f64 v[14:15], v[148:149], s[14:15], -v[14:15]
	v_add_f64 v[10:11], v[144:145], v[10:11]
	v_fma_f64 v[144:145], v[152:153], s[18:19], -v[146:147]
	v_add_f64 v[221:222], v[221:222], -v[213:214]
	v_add_f64 v[140:141], v[140:141], v[203:204]
	v_mul_f64 v[203:204], v[78:79], s[0:1]
	v_add_f64 v[14:15], v[14:15], v[243:244]
	v_mul_f64 v[243:244], v[164:165], s[36:37]
	v_add_f64 v[140:141], v[142:143], v[140:141]
	v_fma_f64 v[142:143], v[158:159], s[26:27], v[197:198]
	v_add_f64 v[14:15], v[144:145], v[14:15]
	v_fma_f64 v[144:145], v[158:159], s[42:43], v[197:198]
	v_add_f64 v[197:198], v[6:7], v[22:23]
	v_mul_f64 v[6:7], v[148:149], s[6:7]
	v_add_f64 v[12:13], v[142:143], v[12:13]
	v_fma_f64 v[142:143], v[156:157], s[22:23], v[199:200]
	v_add_f64 v[10:11], v[144:145], v[10:11]
	v_fma_f64 v[144:145], v[156:157], s[22:23], -v[199:200]
	v_add_f64 v[199:200], v[4:5], v[24:25]
	v_mul_f64 v[4:5], v[184:185], s[6:7]
	v_add_f64 v[6:7], v[6:7], -v[205:206]
	v_add_f64 v[140:141], v[142:143], v[140:141]
	v_fma_f64 v[142:143], v[170:171], s[52:53], v[203:204]
	v_add_f64 v[14:15], v[144:145], v[14:15]
	v_fma_f64 v[144:145], v[170:171], s[2:3], v[203:204]
	v_add_f64 v[4:5], v[227:228], v[4:5]
	v_add_f64 v[6:7], v[6:7], v[8:9]
	v_mul_f64 v[8:9], v[184:185], s[18:19]
	v_mul_f64 v[203:204], v[156:157], s[18:19]
	v_add_f64 v[12:13], v[142:143], v[12:13]
	v_fma_f64 v[142:143], v[160:161], s[0:1], v[207:208]
	v_add_f64 v[10:11], v[144:145], v[10:11]
	v_fma_f64 v[144:145], v[160:161], s[0:1], -v[207:208]
	v_add_f64 v[4:5], v[4:5], v[245:246]
	v_mul_f64 v[207:208], v[78:79], s[20:21]
	v_fma_f64 v[245:246], v[82:83], s[34:35], v[8:9]
	v_add_f64 v[203:204], v[203:204], -v[20:21]
	v_fma_f64 v[8:9], v[82:83], s[48:49], v[8:9]
	v_add_f64 v[140:141], v[142:143], v[140:141]
	v_fma_f64 v[142:143], v[174:175], s[50:51], v[209:210]
	v_add_f64 v[14:15], v[144:145], v[14:15]
	;; [unrolled: 2-line block ×3, first 2 shown]
	v_mul_f64 v[209:210], v[160:161], s[20:21]
	v_add_f64 v[0:1], v[245:246], v[0:1]
	v_mul_f64 v[245:246], v[66:67], s[34:35]
	v_add_f64 v[12:13], v[142:143], v[12:13]
	v_fma_f64 v[142:143], v[162:163], s[36:37], v[215:216]
	v_add_f64 v[10:11], v[144:145], v[10:11]
	v_fma_f64 v[144:145], v[162:163], s[36:37], -v[215:216]
	v_mul_f64 v[215:216], v[80:81], s[22:23]
	v_add_f64 v[209:210], v[209:210], -v[201:202]
	v_add_f64 v[140:141], v[142:143], v[140:141]
	v_fma_f64 v[142:143], v[172:173], s[12:13], v[225:226]
	v_add_f64 v[14:15], v[144:145], v[14:15]
	v_fma_f64 v[144:145], v[172:173], s[46:47], v[225:226]
	v_add_f64 v[215:216], v[16:17], v[215:216]
	v_mul_f64 v[225:226], v[72:73], s[28:29]
	v_add_f64 v[12:13], v[142:143], v[12:13]
	v_fma_f64 v[142:143], v[168:169], s[6:7], v[233:234]
	v_add_f64 v[10:11], v[144:145], v[10:11]
	v_fma_f64 v[144:145], v[168:169], s[6:7], -v[233:234]
	v_add_f64 v[225:226], v[126:127], v[225:226]
	v_mul_f64 v[233:234], v[168:169], s[28:29]
	v_add_f64 v[140:141], v[142:143], v[140:141]
	v_fma_f64 v[142:143], v[166:167], s[54:55], v[235:236]
	v_add_f64 v[14:15], v[144:145], v[14:15]
	v_fma_f64 v[144:145], v[166:167], s[24:25], v[235:236]
	v_add_f64 v[233:234], v[233:234], -v[104:105]
	v_mul_f64 v[235:236], v[64:65], s[36:37]
	v_add_f64 v[142:143], v[142:143], v[12:13]
	v_mul_f64 v[12:13], v[229:230], s[24:25]
	v_add_f64 v[146:147], v[144:145], v[10:11]
	v_mul_f64 v[10:11], v[188:189], s[14:15]
	v_fma_f64 v[251:252], v[164:165], s[20:21], v[12:13]
	v_fma_f64 v[12:13], v[164:165], s[20:21], -v[12:13]
	v_add_f64 v[140:141], v[251:252], v[140:141]
	v_add_f64 v[144:145], v[12:13], v[14:15]
	s_clause 0x3
	buffer_load_dword v12, off, s[56:59], 0 offset:296
	buffer_load_dword v13, off, s[56:59], 0 offset:300
	;; [unrolled: 1-line block ×4, first 2 shown]
	v_mul_f64 v[14:15], v[192:193], s[18:19]
	v_fma_f64 v[251:252], v[148:149], s[18:19], -v[245:246]
	v_add_f64 v[14:15], v[70:71], v[14:15]
	v_add_f64 v[2:3], v[251:252], v[2:3]
	;; [unrolled: 1-line block ×3, first 2 shown]
	s_waitcnt vmcnt(2)
	v_add_f64 v[10:11], v[12:13], v[10:11]
	v_mul_f64 v[12:13], v[152:153], s[14:15]
	s_waitcnt vmcnt(0)
	v_add_f64 v[128:129], v[243:244], -v[16:17]
	v_add_f64 v[4:5], v[10:11], v[4:5]
	v_add_f64 v[12:13], v[12:13], -v[18:19]
	v_mul_f64 v[10:11], v[188:189], s[22:23]
	v_mov_b32_e32 v18, v190
	v_mov_b32_e32 v19, v191
	v_add_f64 v[4:5], v[14:15], v[4:5]
	v_add_f64 v[6:7], v[12:13], v[6:7]
	v_fma_f64 v[12:13], v[154:155], s[26:27], v[10:11]
	v_mul_f64 v[14:15], v[192:193], s[36:37]
	v_fma_f64 v[10:11], v[154:155], s[42:43], v[10:11]
	v_add_f64 v[4:5], v[207:208], v[4:5]
	v_add_f64 v[6:7], v[203:204], v[6:7]
	;; [unrolled: 1-line block ×3, first 2 shown]
	v_mul_f64 v[12:13], v[68:69], s[26:27]
	v_fma_f64 v[203:204], v[158:159], s[38:39], v[14:15]
	v_mul_f64 v[207:208], v[78:79], s[28:29]
	v_fma_f64 v[14:15], v[158:159], s[50:51], v[14:15]
	v_add_f64 v[4:5], v[215:216], v[4:5]
	v_add_f64 v[6:7], v[209:210], v[6:7]
	v_mul_f64 v[215:216], v[80:81], s[20:21]
	v_fma_f64 v[251:252], v[152:153], s[22:23], -v[12:13]
	v_add_f64 v[0:1], v[203:204], v[0:1]
	v_mul_f64 v[203:204], v[194:195], s[38:39]
	v_fma_f64 v[209:210], v[170:171], s[40:41], v[207:208]
	v_fma_f64 v[12:13], v[152:153], s[22:23], v[12:13]
	v_add_f64 v[4:5], v[225:226], v[4:5]
	v_add_f64 v[6:7], v[221:222], v[6:7]
	v_fma_f64 v[221:222], v[174:175], s[54:55], v[215:216]
	v_add_f64 v[2:3], v[251:252], v[2:3]
	buffer_store_dword v4, off, s[56:59], 0 offset:296 ; 4-byte Folded Spill
	buffer_store_dword v5, off, s[56:59], 0 offset:300 ; 4-byte Folded Spill
	v_fma_f64 v[251:252], v[156:157], s[36:37], -v[203:204]
	v_add_f64 v[0:1], v[209:210], v[0:1]
	v_mul_f64 v[209:210], v[190:191], s[40:41]
	v_add_f64 v[4:5], v[233:234], v[6:7]
	buffer_store_dword v4, off, s[56:59], 0 offset:512 ; 4-byte Folded Spill
	buffer_store_dword v5, off, s[56:59], 0 offset:516 ; 4-byte Folded Spill
	v_add_f64 v[2:3], v[251:252], v[2:3]
	v_fma_f64 v[251:252], v[160:161], s[28:29], -v[209:210]
	v_add_f64 v[0:1], v[221:222], v[0:1]
	v_mul_f64 v[221:222], v[211:212], s[54:55]
	v_add_f64 v[2:3], v[251:252], v[2:3]
	v_fma_f64 v[225:226], v[162:163], s[20:21], -v[221:222]
	v_add_f64 v[2:3], v[225:226], v[2:3]
	v_mul_f64 v[225:226], v[72:73], s[14:15]
	v_fma_f64 v[233:234], v[172:173], s[44:45], v[225:226]
	v_add_f64 v[0:1], v[233:234], v[0:1]
	v_mul_f64 v[233:234], v[150:151], s[44:45]
	buffer_store_dword v0, off, s[56:59], 0 offset:520 ; 4-byte Folded Spill
	buffer_store_dword v1, off, s[56:59], 0 offset:524 ; 4-byte Folded Spill
	v_fma_f64 v[251:252], v[168:169], s[14:15], -v[233:234]
	v_add_f64 v[0:1], v[251:252], v[2:3]
	v_mul_f64 v[251:252], v[184:185], s[22:23]
	buffer_store_dword v0, off, s[56:59], 0 offset:528 ; 4-byte Folded Spill
	buffer_store_dword v1, off, s[56:59], 0 offset:532 ; 4-byte Folded Spill
	v_fma_f64 v[16:17], v[82:83], s[26:27], v[251:252]
	v_add_f64 v[16:17], v[16:17], v[239:240]
	v_fma_f64 v[239:240], v[148:149], s[22:23], -v[178:179]
	v_add_f64 v[239:240], v[239:240], v[241:242]
	v_mul_f64 v[241:242], v[188:189], s[36:37]
	v_fma_f64 v[20:21], v[154:155], s[50:51], v[241:242]
	v_add_f64 v[16:17], v[20:21], v[16:17]
	v_mul_f64 v[20:21], v[68:69], s[50:51]
	v_fma_f64 v[22:23], v[152:153], s[36:37], -v[20:21]
	v_fma_f64 v[20:21], v[152:153], s[36:37], v[20:21]
	v_add_f64 v[22:23], v[22:23], v[239:240]
	v_mul_f64 v[239:240], v[192:193], s[20:21]
	v_fma_f64 v[24:25], v[158:159], s[54:55], v[239:240]
	v_add_f64 v[16:17], v[24:25], v[16:17]
	v_mul_f64 v[24:25], v[194:195], s[54:55]
	v_fma_f64 v[26:27], v[156:157], s[20:21], -v[24:25]
	v_fma_f64 v[24:25], v[156:157], s[20:21], v[24:25]
	v_add_f64 v[22:23], v[26:27], v[22:23]
	v_mul_f64 v[26:27], v[78:79], s[6:7]
	v_fma_f64 v[28:29], v[170:171], s[46:47], v[26:27]
	v_fma_f64 v[26:27], v[170:171], s[12:13], v[26:27]
	v_add_f64 v[16:17], v[28:29], v[16:17]
	v_mul_f64 v[28:29], v[18:19], s[46:47]
	v_fma_f64 v[30:31], v[160:161], s[6:7], -v[28:29]
	v_add_f64 v[22:23], v[30:31], v[22:23]
	v_mul_f64 v[30:31], v[80:81], s[0:1]
	v_fma_f64 v[32:33], v[174:175], s[2:3], v[30:31]
	v_add_f64 v[16:17], v[32:33], v[16:17]
	v_mul_f64 v[32:33], v[211:212], s[2:3]
	v_fma_f64 v[34:35], v[162:163], s[0:1], -v[32:33]
	v_add_f64 v[22:23], v[34:35], v[22:23]
	v_mul_f64 v[34:35], v[72:73], s[18:19]
	v_fma_f64 v[36:37], v[172:173], s[34:35], v[34:35]
	v_fma_f64 v[34:35], v[172:173], s[48:49], v[34:35]
	v_add_f64 v[0:1], v[36:37], v[16:17]
	v_mul_f64 v[36:37], v[150:151], s[34:35]
	buffer_store_dword v0, off, s[56:59], 0 offset:536 ; 4-byte Folded Spill
	buffer_store_dword v1, off, s[56:59], 0 offset:540 ; 4-byte Folded Spill
	v_fma_f64 v[38:39], v[168:169], s[18:19], -v[36:37]
	v_fma_f64 v[36:37], v[168:169], s[18:19], v[36:37]
	v_add_f64 v[0:1], v[38:39], v[22:23]
	v_mul_f64 v[38:39], v[184:185], s[36:37]
	buffer_store_dword v0, off, s[56:59], 0 offset:544 ; 4-byte Folded Spill
	buffer_store_dword v1, off, s[56:59], 0 offset:548 ; 4-byte Folded Spill
	v_fma_f64 v[40:41], v[82:83], s[38:39], v[38:39]
	s_clause 0x1
	buffer_load_dword v16, off, s[56:59], 0 offset:504
	buffer_load_dword v17, off, s[56:59], 0 offset:508
	v_fma_f64 v[38:39], v[82:83], s[50:51], v[38:39]
	v_add_f64 v[40:41], v[40:41], v[237:238]
	v_fma_f64 v[237:238], v[154:155], s[54:55], v[42:43]
	v_fma_f64 v[42:43], v[154:155], s[24:25], v[42:43]
	v_add_f64 v[40:41], v[237:238], v[40:41]
	v_mul_f64 v[237:238], v[66:67], s[38:39]
	v_fma_f64 v[44:45], v[148:149], s[36:37], -v[237:238]
	v_add_f64 v[44:45], v[44:45], v[253:254]
	v_fma_f64 v[253:254], v[158:159], s[52:53], v[46:47]
	v_fma_f64 v[46:47], v[158:159], s[2:3], v[46:47]
	v_add_f64 v[40:41], v[253:254], v[40:41]
	v_mul_f64 v[253:254], v[68:69], s[54:55]
	v_fma_f64 v[48:49], v[152:153], s[20:21], -v[253:254]
	v_add_f64 v[44:45], v[48:49], v[44:45]
	v_mul_f64 v[48:49], v[78:79], s[14:15]
	v_fma_f64 v[50:51], v[170:171], s[16:17], v[48:49]
	v_add_f64 v[40:41], v[50:51], v[40:41]
	v_mul_f64 v[50:51], v[194:195], s[52:53]
	v_fma_f64 v[205:206], v[156:157], s[0:1], -v[50:51]
	v_add_f64 v[44:45], v[205:206], v[44:45]
	v_mul_f64 v[205:206], v[80:81], s[28:29]
	;; [unrolled: 6-line block ×4, first 2 shown]
	v_fma_f64 v[58:59], v[168:169], s[22:23], -v[56:57]
	v_add_f64 v[44:45], v[58:59], v[44:45]
	v_mul_f64 v[58:59], v[184:185], s[28:29]
	v_fma_f64 v[60:61], v[82:83], s[40:41], v[58:59]
	v_fma_f64 v[58:59], v[82:83], s[30:31], v[58:59]
	v_add_f64 v[60:61], v[60:61], v[231:232]
	v_fma_f64 v[231:232], v[148:149], s[28:29], -v[62:63]
	v_fma_f64 v[62:63], v[148:149], s[28:29], v[62:63]
	v_add_f64 v[231:232], v[231:232], v[249:250]
	v_mul_f64 v[249:250], v[188:189], s[6:7]
	v_mul_f64 v[188:189], v[188:189], s[0:1]
	v_fma_f64 v[235:236], v[154:155], s[46:47], v[249:250]
	v_fma_f64 v[186:187], v[154:155], s[2:3], v[188:189]
	;; [unrolled: 1-line block ×3, first 2 shown]
	v_add_f64 v[60:61], v[235:236], v[60:61]
	v_mul_f64 v[235:236], v[68:69], s[46:47]
	v_fma_f64 v[243:244], v[152:153], s[6:7], -v[235:236]
	v_add_f64 v[231:232], v[243:244], v[231:232]
	v_mul_f64 v[243:244], v[192:193], s[14:15]
	v_fma_f64 v[247:248], v[158:159], s[16:17], v[243:244]
	v_add_f64 v[60:61], v[247:248], v[60:61]
	v_mul_f64 v[247:248], v[194:195], s[16:17]
	v_fma_f64 v[227:228], v[156:157], s[14:15], -v[247:248]
	v_add_f64 v[227:228], v[227:228], v[231:232]
	v_mul_f64 v[231:232], v[78:79], s[36:37]
	v_fma_f64 v[217:218], v[170:171], s[38:39], v[231:232]
	;; [unrolled: 6-line block ×3, first 2 shown]
	v_add_f64 v[6:7], v[6:7], v[60:61]
	v_mul_f64 v[60:61], v[211:212], s[48:49]
	v_fma_f64 v[0:1], v[162:163], s[18:19], -v[60:61]
	v_fma_f64 v[60:61], v[162:163], s[18:19], v[60:61]
	v_add_f64 v[0:1], v[0:1], v[4:5]
	v_mul_f64 v[4:5], v[72:73], s[0:1]
	v_fma_f64 v[2:3], v[172:173], s[2:3], v[4:5]
	v_fma_f64 v[4:5], v[172:173], s[52:53], v[4:5]
	v_add_f64 v[2:3], v[2:3], v[6:7]
	v_mul_f64 v[6:7], v[150:151], s[2:3]
	v_fma_f64 v[176:177], v[168:169], s[0:1], -v[6:7]
	v_fma_f64 v[6:7], v[168:169], s[0:1], v[6:7]
	v_add_f64 v[0:1], v[176:177], v[0:1]
	v_mul_f64 v[176:177], v[184:185], s[20:21]
	v_fma_f64 v[184:185], v[82:83], s[54:55], v[176:177]
	v_fma_f64 v[176:177], v[82:83], s[24:25], v[176:177]
	s_waitcnt vmcnt(0)
	v_add_f64 v[184:185], v[184:185], v[16:17]
	s_clause 0x1
	buffer_load_dword v16, off, s[56:59], 0 offset:496
	buffer_load_dword v17, off, s[56:59], 0 offset:500
	v_add_f64 v[184:185], v[186:187], v[184:185]
	v_mul_f64 v[186:187], v[68:69], s[2:3]
	v_fma_f64 v[190:191], v[152:153], s[0:1], -v[186:187]
	v_fma_f64 v[186:187], v[152:153], s[0:1], v[186:187]
	s_waitcnt vmcnt(0)
	v_add_f64 v[182:183], v[182:183], v[16:17]
	v_add_f64 v[182:183], v[190:191], v[182:183]
	v_mul_f64 v[190:191], v[192:193], s[28:29]
	v_fma_f64 v[192:193], v[158:159], s[30:31], v[190:191]
	v_add_f64 v[184:185], v[192:193], v[184:185]
	v_mul_f64 v[192:193], v[194:195], s[30:31]
	v_mul_f64 v[194:195], v[211:212], s[12:13]
	;; [unrolled: 1-line block ×3, first 2 shown]
	v_fma_f64 v[150:151], v[168:169], s[14:15], v[233:234]
	v_fma_f64 v[16:17], v[156:157], s[28:29], -v[192:193]
	v_add_f64 v[16:17], v[16:17], v[182:183]
	v_mul_f64 v[182:183], v[78:79], s[18:19]
	v_mov_b32_e32 v76, v88
	v_mov_b32_e32 v77, v89
	;; [unrolled: 1-line block ×4, first 2 shown]
	v_fma_f64 v[201:202], v[170:171], s[48:49], v[182:183]
	v_fma_f64 v[182:183], v[170:171], s[34:35], v[182:183]
	v_add_f64 v[184:185], v[201:202], v[184:185]
	v_mul_f64 v[201:202], v[18:19], s[48:49]
	s_clause 0x1
	buffer_load_dword v18, off, s[56:59], 0 offset:488
	buffer_load_dword v19, off, s[56:59], 0 offset:492
	v_fma_f64 v[22:23], v[160:161], s[18:19], -v[201:202]
	v_add_f64 v[16:17], v[22:23], v[16:17]
	v_mul_f64 v[22:23], v[80:81], s[6:7]
	v_fma_f64 v[213:214], v[174:175], s[12:13], v[22:23]
	v_fma_f64 v[22:23], v[174:175], s[46:47], v[22:23]
	v_add_f64 v[184:185], v[213:214], v[184:185]
	v_fma_f64 v[213:214], v[162:163], s[6:7], -v[194:195]
	v_add_f64 v[16:17], v[213:214], v[16:17]
	v_mul_f64 v[213:214], v[72:73], s[36:37]
	v_mov_b32_e32 v72, v92
	v_mov_b32_e32 v73, v93
	;; [unrolled: 1-line block ×4, first 2 shown]
	v_fma_f64 v[223:224], v[172:173], s[38:39], v[213:214]
	v_add_f64 v[184:185], v[223:224], v[184:185]
	v_fma_f64 v[223:224], v[168:169], s[36:37], -v[211:212]
	v_add_f64 v[16:17], v[223:224], v[16:17]
	s_waitcnt vmcnt(0)
	v_add_f64 v[176:177], v[176:177], v[18:19]
	s_clause 0x1
	buffer_load_dword v18, off, s[56:59], 0 offset:480
	buffer_load_dword v19, off, s[56:59], 0 offset:484
	v_add_f64 v[176:177], v[188:189], v[176:177]
	s_waitcnt vmcnt(0)
	v_add_f64 v[180:181], v[180:181], v[18:19]
	s_clause 0x2
	buffer_load_dword v18, off, s[56:59], 0 offset:472
	buffer_load_dword v19, off, s[56:59], 0 offset:476
	;; [unrolled: 1-line block ×3, first 2 shown]
	v_add_f64 v[180:181], v[186:187], v[180:181]
	v_fma_f64 v[186:187], v[158:159], s[40:41], v[190:191]
	v_add_f64 v[176:177], v[186:187], v[176:177]
	v_fma_f64 v[186:187], v[156:157], s[28:29], v[192:193]
	v_add_f64 v[176:177], v[182:183], v[176:177]
	v_add_f64 v[180:181], v[186:187], v[180:181]
	v_fma_f64 v[182:183], v[160:161], s[18:19], v[201:202]
	v_add_f64 v[22:23], v[22:23], v[176:177]
	v_fma_f64 v[176:177], v[162:163], s[6:7], v[194:195]
	v_add_f64 v[180:181], v[182:183], v[180:181]
	;; [unrolled: 5-line block ×3, first 2 shown]
	v_fma_f64 v[180:181], v[154:155], s[12:13], v[249:250]
	s_waitcnt vmcnt(1)
	v_add_f64 v[58:59], v[58:59], v[18:19]
	s_clause 0x1
	buffer_load_dword v18, off, s[56:59], 0 offset:464
	buffer_load_dword v19, off, s[56:59], 0 offset:468
	v_add_f64 v[58:59], v[180:181], v[58:59]
	v_fma_f64 v[180:181], v[158:159], s[44:45], v[243:244]
	v_add_f64 v[58:59], v[180:181], v[58:59]
	v_fma_f64 v[180:181], v[170:171], s[50:51], v[231:232]
	;; [unrolled: 2-line block ×4, first 2 shown]
	v_add_f64 v[4:5], v[4:5], v[58:59]
	s_waitcnt vmcnt(0)
	v_add_f64 v[62:63], v[62:63], v[18:19]
	s_clause 0x1
	buffer_load_dword v18, off, s[56:59], 0 offset:456
	buffer_load_dword v19, off, s[56:59], 0 offset:460
	v_add_f64 v[62:63], v[180:181], v[62:63]
	v_fma_f64 v[180:181], v[156:157], s[14:15], v[247:248]
	v_add_f64 v[62:63], v[180:181], v[62:63]
	v_fma_f64 v[180:181], v[160:161], s[36:37], v[217:218]
	v_add_f64 v[62:63], v[180:181], v[62:63]
	v_add_f64 v[60:61], v[60:61], v[62:63]
	v_fma_f64 v[62:63], v[148:149], s[36:37], v[237:238]
	v_add_f64 v[6:7], v[6:7], v[60:61]
	s_waitcnt vmcnt(0)
	v_add_f64 v[38:39], v[38:39], v[18:19]
	s_clause 0x1
	buffer_load_dword v18, off, s[56:59], 0 offset:448
	buffer_load_dword v19, off, s[56:59], 0 offset:452
	v_add_f64 v[38:39], v[42:43], v[38:39]
	v_fma_f64 v[42:43], v[152:153], s[20:21], v[253:254]
	buffer_load_dword v254, off, s[56:59], 0 offset:316 ; 4-byte Folded Reload
	v_mov_b32_e32 v253, v66
	v_add_f64 v[38:39], v[46:47], v[38:39]
	v_fma_f64 v[46:47], v[156:157], s[0:1], v[50:51]
	v_mul_f64 v[50:51], v[64:65], s[6:7]
	s_waitcnt vmcnt(1)
	v_add_f64 v[62:63], v[62:63], v[18:19]
	s_clause 0x1
	buffer_load_dword v18, off, s[56:59], 0 offset:440
	buffer_load_dword v19, off, s[56:59], 0 offset:444
	v_add_f64 v[42:43], v[42:43], v[62:63]
	v_mul_f64 v[62:63], v[130:131], s[44:45]
	v_add_f64 v[42:43], v[46:47], v[42:43]
	v_fma_f64 v[46:47], v[170:171], s[44:45], v[48:49]
	v_fma_f64 v[48:49], v[154:155], s[38:39], v[241:242]
	v_add_f64 v[38:39], v[46:47], v[38:39]
	v_fma_f64 v[46:47], v[160:161], s[14:15], v[52:53]
	v_fma_f64 v[52:53], v[172:173], s[26:27], v[54:55]
	;; [unrolled: 1-line block ×3, first 2 shown]
	v_mul_f64 v[56:57], v[64:65], s[14:15]
	v_add_f64 v[42:43], v[46:47], v[42:43]
	v_fma_f64 v[46:47], v[82:83], s[42:43], v[251:252]
	v_mov_b32_e32 v252, v87
	v_mov_b32_e32 v251, v86
	;; [unrolled: 1-line block ×8, first 2 shown]
	s_waitcnt vmcnt(0)
	v_add_f64 v[46:47], v[46:47], v[18:19]
	v_fma_f64 v[18:19], v[148:149], s[22:23], v[178:179]
	v_add_f64 v[46:47], v[48:49], v[46:47]
	v_fma_f64 v[48:49], v[158:159], s[24:25], v[239:240]
	v_add_f64 v[46:47], v[48:49], v[46:47]
	v_fma_f64 v[48:49], v[162:163], s[20:21], v[221:222]
	v_add_f64 v[26:27], v[26:27], v[46:47]
	s_clause 0x1
	buffer_load_dword v46, off, s[56:59], 0 offset:432
	buffer_load_dword v47, off, s[56:59], 0 offset:436
	s_waitcnt vmcnt(0)
	v_add_f64 v[18:19], v[18:19], v[46:47]
	v_fma_f64 v[46:47], v[148:149], s[18:19], v[245:246]
	v_mov_b32_e32 v247, v109
	v_mov_b32_e32 v246, v108
	;; [unrolled: 1-line block ×24, first 2 shown]
	s_clause 0x13
	buffer_load_dword v88, off, s[56:59], 0 offset:400
	buffer_load_dword v89, off, s[56:59], 0 offset:404
	;; [unrolled: 1-line block ×20, first 2 shown]
	v_add_f64 v[18:19], v[20:21], v[18:19]
	s_clause 0x1
	buffer_load_dword v20, off, s[56:59], 0 offset:424
	buffer_load_dword v21, off, s[56:59], 0 offset:428
	v_fma_f64 v[148:149], v[172:173], s[16:17], v[225:226]
	v_add_f64 v[18:19], v[24:25], v[18:19]
	v_fma_f64 v[24:25], v[162:163], s[28:29], v[229:230]
	v_add_f64 v[24:25], v[24:25], v[42:43]
	;; [unrolled: 2-line block ×3, first 2 shown]
	s_waitcnt vmcnt(0)
	v_add_f64 v[8:9], v[8:9], v[20:21]
	s_clause 0x1
	buffer_load_dword v20, off, s[56:59], 0 offset:416
	buffer_load_dword v21, off, s[56:59], 0 offset:420
	v_add_f64 v[8:9], v[10:11], v[8:9]
	v_fma_f64 v[10:11], v[156:157], s[36:37], v[203:204]
	v_add_f64 v[8:9], v[14:15], v[8:9]
	v_fma_f64 v[14:15], v[160:161], s[28:29], v[209:210]
	s_waitcnt vmcnt(0)
	v_add_f64 v[20:21], v[46:47], v[20:21]
	v_mul_f64 v[46:47], v[64:65], s[28:29]
	v_add_f64 v[12:13], v[12:13], v[20:21]
	v_fma_f64 v[20:21], v[160:161], s[6:7], v[28:29]
	v_fma_f64 v[28:29], v[174:175], s[52:53], v[30:31]
	v_fma_f64 v[30:31], v[162:163], s[0:1], v[32:33]
	v_mul_f64 v[32:33], v[64:65], s[0:1]
	v_add_f64 v[10:11], v[10:11], v[12:13]
	v_add_f64 v[18:19], v[20:21], v[18:19]
	v_add_f64 v[26:27], v[28:29], v[26:27]
	v_mul_f64 v[28:29], v[64:65], s[22:23]
	s_clause 0x1
	buffer_load_dword v64, off, s[56:59], 0 offset:296
	buffer_load_dword v65, off, s[56:59], 0 offset:300
	v_fma_f64 v[20:21], v[170:171], s[30:31], v[207:208]
	v_fma_f64 v[58:59], v[166:167], s[52:53], v[32:33]
	;; [unrolled: 1-line block ×4, first 2 shown]
	v_add_f64 v[10:11], v[14:15], v[10:11]
	v_mul_f64 v[14:15], v[130:131], s[46:47]
	v_add_f64 v[18:19], v[30:31], v[18:19]
	v_mul_f64 v[30:31], v[130:131], s[26:27]
	v_add_f64 v[26:27], v[34:35], v[26:27]
	v_add_f64 v[8:9], v[20:21], v[8:9]
	v_mul_f64 v[20:21], v[130:131], s[30:31]
	v_add_f64 v[12:13], v[12:13], v[38:39]
	v_mul_f64 v[38:39], v[130:131], s[52:53]
	v_fma_f64 v[34:35], v[166:167], s[44:45], v[56:57]
	v_fma_f64 v[56:57], v[166:167], s[16:17], v[56:57]
	v_add_f64 v[10:11], v[48:49], v[10:11]
	v_fma_f64 v[48:49], v[166:167], s[46:47], v[50:51]
	v_fma_f64 v[60:61], v[164:165], s[6:7], -v[14:15]
	v_fma_f64 v[54:55], v[164:165], s[22:23], -v[30:31]
	v_add_f64 v[18:19], v[36:37], v[18:19]
	v_add_f64 v[8:9], v[42:43], v[8:9]
	v_fma_f64 v[42:43], v[166:167], s[30:31], v[46:47]
	v_fma_f64 v[156:157], v[164:165], s[28:29], -v[20:21]
	v_fma_f64 v[152:153], v[164:165], s[0:1], -v[38:39]
	v_add_f64 v[12:13], v[52:53], v[12:13]
	v_fma_f64 v[52:53], v[166:167], s[26:27], v[28:29]
	v_fma_f64 v[36:37], v[164:165], s[14:15], -v[62:63]
	v_fma_f64 v[62:63], v[164:165], s[14:15], v[62:63]
	v_fma_f64 v[28:29], v[166:167], s[42:43], v[28:29]
	;; [unrolled: 1-line block ×8, first 2 shown]
	v_add_f64 v[170:171], v[34:35], v[184:185]
	v_add_f64 v[174:175], v[56:57], v[22:23]
	;; [unrolled: 1-line block ×6, first 2 shown]
	v_lshl_add_u32 v0, v66, 4, v254
	v_add_f64 v[8:9], v[148:149], v[8:9]
	v_add_f64 v[166:167], v[52:53], v[2:3]
	;; [unrolled: 1-line block ×12, first 2 shown]
	s_waitcnt vmcnt(0)
	v_add_f64 v[150:151], v[70:71], v[64:65]
	s_clause 0x1
	buffer_load_dword v64, off, s[56:59], 0 offset:512
	buffer_load_dword v65, off, s[56:59], 0 offset:516
	s_waitcnt vmcnt(0)
	v_add_f64 v[148:149], v[128:129], v[64:65]
	s_clause 0x1
	buffer_load_dword v64, off, s[56:59], 0 offset:520
	buffer_load_dword v65, off, s[56:59], 0 offset:524
	;; [unrolled: 5-line block ×5, first 2 shown]
	s_waitcnt vmcnt(0)
	v_add_f64 v[156:157], v[156:157], v[42:43]
	ds_write_b128 v220, v[197:200]
	ds_write_b128 v0, v[148:151] offset:256
	ds_write_b128 v0, v[152:155] offset:512
	;; [unrolled: 1-line block ×15, first 2 shown]
	s_clause 0x3
	buffer_load_dword v68, off, s[56:59], 0 offset:320
	buffer_load_dword v69, off, s[56:59], 0 offset:324
	;; [unrolled: 1-line block ×4, first 2 shown]
	ds_write_b128 v0, v[104:107] offset:4096
.LBB0_5:
	s_or_b32 exec_lo, exec_lo, s33
	s_clause 0x1
	buffer_load_dword v2, off, s[56:59], 0 offset:256
	buffer_load_dword v3, off, s[56:59], 0 offset:260
	s_waitcnt vmcnt(0) lgkmcnt(0)
	s_waitcnt_vscnt null, 0x0
	s_barrier
	buffer_gl0_inv
	s_mov_b32 s3, 0x3fe6a09e
	s_mov_b32 s6, 0xcf328d46
	s_mov_b32 s12, 0xa6aea964
	s_mov_b32 s7, 0xbfed906b
	s_mov_b32 s13, 0x3fd87de2
	s_mov_b32 s15, 0xbfd87de2
	s_mov_b32 s17, 0x3fed906b
	s_mov_b32 s14, s12
	s_mov_b32 s16, s6
	v_add_co_u32 v0, s0, 0x1000, v2
	v_add_co_ci_u32_e64 v1, s0, 0, v3, s0
	global_load_dwordx4 v[132:135], v[0:1], off offset:256
	v_add_co_u32 v0, s0, 0x1100, v2
	v_add_co_ci_u32_e64 v1, s0, 0, v3, s0
	s_clause 0x6
	global_load_dwordx4 v[136:139], v[0:1], off offset:272
	global_load_dwordx4 v[140:143], v[0:1], off offset:544
	;; [unrolled: 1-line block ×7, first 2 shown]
	v_add_co_u32 v0, s0, 0x1800, v2
	v_add_co_ci_u32_e64 v1, s0, 0, v3, s0
	v_add_co_u32 v2, s0, 0x2000, v2
	s_clause 0x5
	global_load_dwordx4 v[164:167], v[0:1], off offset:384
	global_load_dwordx4 v[168:171], v[0:1], off offset:656
	;; [unrolled: 1-line block ×6, first 2 shown]
	v_add_co_ci_u32_e64 v3, s0, 0, v3, s0
	s_clause 0x1
	global_load_dwordx4 v[188:191], v[0:1], off offset:2016
	global_load_dwordx4 v[192:195], v[2:3], off offset:240
	ds_read_b128 v[197:200], v255
	ds_read_b128 v[201:204], v255 offset:272
	ds_read_b128 v[205:208], v255 offset:544
	;; [unrolled: 1-line block ×7, first 2 shown]
	s_mov_b32 s0, 0x667f3bcd
	s_mov_b32 s1, 0xbfe6a09e
	;; [unrolled: 1-line block ×3, first 2 shown]
	ds_read_b128 v[232:235], v255 offset:2448
	s_waitcnt vmcnt(15) lgkmcnt(8)
	v_mul_f64 v[0:1], v[199:200], v[134:135]
	v_mul_f64 v[2:3], v[197:198], v[134:135]
	s_waitcnt vmcnt(14) lgkmcnt(7)
	v_mul_f64 v[4:5], v[203:204], v[138:139]
	v_mul_f64 v[6:7], v[201:202], v[138:139]
	s_waitcnt vmcnt(13) lgkmcnt(6)
	v_mul_f64 v[8:9], v[207:208], v[142:143]
	v_mul_f64 v[10:11], v[205:206], v[142:143]
	s_waitcnt vmcnt(12) lgkmcnt(5)
	v_mul_f64 v[12:13], v[211:212], v[146:147]
	v_mul_f64 v[14:15], v[209:210], v[146:147]
	s_waitcnt vmcnt(11) lgkmcnt(4)
	v_mul_f64 v[16:17], v[215:216], v[150:151]
	v_mul_f64 v[18:19], v[213:214], v[150:151]
	v_fma_f64 v[197:198], v[197:198], v[132:133], -v[0:1]
	v_fma_f64 v[199:200], v[199:200], v[132:133], v[2:3]
	ds_read_b128 v[132:135], v255 offset:2176
	s_waitcnt vmcnt(10) lgkmcnt(4)
	v_mul_f64 v[0:1], v[222:223], v[154:155]
	v_mul_f64 v[2:3], v[220:221], v[154:155]
	v_fma_f64 v[201:202], v[201:202], v[136:137], -v[4:5]
	v_fma_f64 v[203:204], v[203:204], v[136:137], v[6:7]
	s_waitcnt vmcnt(9) lgkmcnt(3)
	v_mul_f64 v[4:5], v[226:227], v[158:159]
	v_mul_f64 v[6:7], v[224:225], v[158:159]
	v_fma_f64 v[136:137], v[205:206], v[140:141], -v[8:9]
	v_fma_f64 v[138:139], v[207:208], v[140:141], v[10:11]
	s_waitcnt vmcnt(8) lgkmcnt(2)
	v_mul_f64 v[8:9], v[230:231], v[162:163]
	v_mul_f64 v[10:11], v[228:229], v[162:163]
	ds_read_b128 v[140:143], v255 offset:2720
	ds_read_b128 v[205:208], v255 offset:2992
	v_fma_f64 v[209:210], v[209:210], v[144:145], -v[12:13]
	v_fma_f64 v[211:212], v[211:212], v[144:145], v[14:15]
	ds_read_b128 v[144:147], v255 offset:3264
	ds_read_b128 v[236:239], v255 offset:3536
	;; [unrolled: 1-line block ×3, first 2 shown]
	v_fma_f64 v[213:214], v[213:214], v[148:149], -v[16:17]
	v_fma_f64 v[215:216], v[215:216], v[148:149], v[18:19]
	s_waitcnt vmcnt(7) lgkmcnt(5)
	v_mul_f64 v[12:13], v[134:135], v[166:167]
	v_mul_f64 v[14:15], v[132:133], v[166:167]
	v_fma_f64 v[148:149], v[220:221], v[152:153], -v[0:1]
	v_fma_f64 v[150:151], v[222:223], v[152:153], v[2:3]
	ds_read_b128 v[152:155], v255 offset:4080
	s_waitcnt vmcnt(6)
	v_mul_f64 v[0:1], v[234:235], v[170:171]
	v_mul_f64 v[2:3], v[232:233], v[170:171]
	v_fma_f64 v[220:221], v[224:225], v[156:157], -v[4:5]
	v_fma_f64 v[222:223], v[226:227], v[156:157], v[6:7]
	s_waitcnt vmcnt(5) lgkmcnt(5)
	v_mul_f64 v[4:5], v[142:143], v[174:175]
	v_mul_f64 v[6:7], v[140:141], v[174:175]
	s_waitcnt vmcnt(4) lgkmcnt(4)
	v_mul_f64 v[16:17], v[207:208], v[178:179]
	v_mul_f64 v[18:19], v[205:206], v[178:179]
	v_fma_f64 v[156:157], v[228:229], v[160:161], -v[8:9]
	v_fma_f64 v[158:159], v[230:231], v[160:161], v[10:11]
	s_waitcnt vmcnt(3) lgkmcnt(3)
	v_mul_f64 v[8:9], v[146:147], v[182:183]
	v_mul_f64 v[10:11], v[144:145], v[182:183]
	s_waitcnt vmcnt(2) lgkmcnt(2)
	;; [unrolled: 8-line block ×3, first 2 shown]
	v_mul_f64 v[24:25], v[154:155], v[194:195]
	v_mul_f64 v[26:27], v[152:153], v[194:195]
	v_fma_f64 v[160:161], v[232:233], v[168:169], -v[0:1]
	v_fma_f64 v[162:163], v[234:235], v[168:169], v[2:3]
	v_fma_f64 v[140:141], v[140:141], v[172:173], -v[4:5]
	v_fma_f64 v[142:143], v[142:143], v[172:173], v[6:7]
	;; [unrolled: 2-line block ×7, first 2 shown]
	ds_write_b128 v255, v[197:200]
	ds_write_b128 v255, v[201:204] offset:272
	ds_write_b128 v255, v[136:139] offset:544
	;; [unrolled: 1-line block ×15, first 2 shown]
	s_waitcnt lgkmcnt(0)
	s_barrier
	buffer_gl0_inv
	ds_read_b128 v[132:135], v255 offset:2176
	ds_read_b128 v[136:139], v255
	ds_read_b128 v[140:143], v255 offset:1088
	ds_read_b128 v[144:147], v255 offset:3264
	;; [unrolled: 1-line block ×14, first 2 shown]
	s_waitcnt lgkmcnt(0)
	s_barrier
	buffer_gl0_inv
	v_add_f64 v[0:1], v[136:137], -v[132:133]
	v_add_f64 v[2:3], v[138:139], -v[134:135]
	;; [unrolled: 1-line block ×16, first 2 shown]
	v_fma_f64 v[32:33], v[136:137], 2.0, -v[0:1]
	v_fma_f64 v[34:35], v[138:139], 2.0, -v[2:3]
	;; [unrolled: 1-line block ×3, first 2 shown]
	v_add_f64 v[38:39], v[0:1], v[6:7]
	v_add_f64 v[4:5], v[2:3], -v[4:5]
	v_fma_f64 v[6:7], v[142:143], 2.0, -v[6:7]
	v_add_f64 v[42:43], v[10:11], -v[12:13]
	v_add_f64 v[40:41], v[8:9], v[14:15]
	v_fma_f64 v[52:53], v[148:149], 2.0, -v[8:9]
	v_fma_f64 v[54:55], v[150:151], 2.0, -v[10:11]
	v_add_f64 v[46:47], v[18:19], -v[20:21]
	v_add_f64 v[44:45], v[16:17], v[22:23]
	v_fma_f64 v[12:13], v[156:157], 2.0, -v[12:13]
	v_fma_f64 v[14:15], v[158:159], 2.0, -v[14:15]
	v_add_f64 v[48:49], v[24:25], v[28:29]
	v_add_f64 v[50:51], v[26:27], -v[30:31]
	v_fma_f64 v[56:57], v[164:165], 2.0, -v[16:17]
	v_fma_f64 v[58:59], v[166:167], 2.0, -v[18:19]
	;; [unrolled: 1-line block ×8, first 2 shown]
	v_add_f64 v[36:37], v[32:33], -v[36:37]
	v_fma_f64 v[0:1], v[0:1], 2.0, -v[38:39]
	v_fma_f64 v[2:3], v[2:3], 2.0, -v[4:5]
	v_add_f64 v[6:7], v[34:35], -v[6:7]
	v_fma_f64 v[10:11], v[10:11], 2.0, -v[42:43]
	v_fma_f64 v[8:9], v[8:9], 2.0, -v[40:41]
	v_fma_f64 v[132:133], v[40:41], s[2:3], v[38:39]
	v_fma_f64 v[134:135], v[42:43], s[2:3], v[4:5]
	v_fma_f64 v[18:19], v[18:19], 2.0, -v[46:47]
	v_fma_f64 v[16:17], v[16:17], 2.0, -v[44:45]
	v_add_f64 v[12:13], v[52:53], -v[12:13]
	v_add_f64 v[14:15], v[54:55], -v[14:15]
	v_fma_f64 v[24:25], v[24:25], 2.0, -v[48:49]
	v_fma_f64 v[26:27], v[26:27], 2.0, -v[50:51]
	v_fma_f64 v[136:137], v[48:49], s[2:3], v[44:45]
	v_fma_f64 v[138:139], v[50:51], s[2:3], v[46:47]
	v_add_f64 v[20:21], v[56:57], -v[20:21]
	v_add_f64 v[22:23], v[58:59], -v[22:23]
	;; [unrolled: 1-line block ×4, first 2 shown]
	v_fma_f64 v[32:33], v[32:33], 2.0, -v[36:37]
	v_fma_f64 v[34:35], v[34:35], 2.0, -v[6:7]
	v_fma_f64 v[142:143], v[10:11], s[0:1], v[2:3]
	v_fma_f64 v[140:141], v[8:9], s[0:1], v[0:1]
	;; [unrolled: 1-line block ×4, first 2 shown]
	v_fma_f64 v[52:53], v[52:53], 2.0, -v[12:13]
	v_fma_f64 v[54:55], v[54:55], 2.0, -v[14:15]
	v_fma_f64 v[144:145], v[24:25], s[0:1], v[16:17]
	v_fma_f64 v[146:147], v[26:27], s[0:1], v[18:19]
	v_add_f64 v[14:15], v[36:37], v[14:15]
	v_add_f64 v[12:13], v[6:7], -v[12:13]
	v_fma_f64 v[56:57], v[56:57], 2.0, -v[20:21]
	v_fma_f64 v[58:59], v[58:59], 2.0, -v[22:23]
	v_fma_f64 v[50:51], v[50:51], s[2:3], v[136:137]
	v_fma_f64 v[48:49], v[48:49], s[0:1], v[138:139]
	v_fma_f64 v[60:61], v[60:61], 2.0, -v[30:31]
	v_fma_f64 v[62:63], v[62:63], 2.0, -v[28:29]
	v_add_f64 v[28:29], v[20:21], v[28:29]
	v_add_f64 v[30:31], v[22:23], -v[30:31]
	v_fma_f64 v[8:9], v[8:9], s[0:1], v[142:143]
	v_fma_f64 v[10:11], v[10:11], s[2:3], v[140:141]
	v_fma_f64 v[38:39], v[38:39], 2.0, -v[42:43]
	v_fma_f64 v[4:5], v[4:5], 2.0, -v[40:41]
	v_add_f64 v[52:53], v[32:33], -v[52:53]
	v_add_f64 v[54:55], v[34:35], -v[54:55]
	v_fma_f64 v[26:27], v[26:27], s[2:3], v[144:145]
	v_fma_f64 v[24:25], v[24:25], s[0:1], v[146:147]
	v_fma_f64 v[36:37], v[36:37], 2.0, -v[14:15]
	v_fma_f64 v[6:7], v[6:7], 2.0, -v[12:13]
	;; [unrolled: 1-line block ×4, first 2 shown]
	v_add_f64 v[60:61], v[56:57], -v[60:61]
	v_add_f64 v[62:63], v[58:59], -v[62:63]
	v_fma_f64 v[20:21], v[20:21], 2.0, -v[28:29]
	v_fma_f64 v[22:23], v[22:23], 2.0, -v[30:31]
	v_fma_f64 v[132:133], v[28:29], s[2:3], v[14:15]
	v_fma_f64 v[134:135], v[30:31], s[2:3], v[12:13]
	v_fma_f64 v[2:3], v[2:3], 2.0, -v[8:9]
	v_fma_f64 v[0:1], v[0:1], 2.0, -v[10:11]
	v_fma_f64 v[136:137], v[50:51], s[16:17], v[42:43]
	v_fma_f64 v[138:139], v[48:49], s[16:17], v[40:41]
	v_fma_f64 v[32:33], v[32:33], 2.0, -v[52:53]
	v_fma_f64 v[34:35], v[34:35], 2.0, -v[54:55]
	;; [unrolled: 1-line block ×4, first 2 shown]
	v_fma_f64 v[156:157], v[26:27], s[12:13], v[10:11]
	v_fma_f64 v[158:159], v[24:25], s[12:13], v[8:9]
	;; [unrolled: 1-line block ×4, first 2 shown]
	v_fma_f64 v[56:57], v[56:57], 2.0, -v[60:61]
	v_fma_f64 v[58:59], v[58:59], 2.0, -v[62:63]
	v_fma_f64 v[144:145], v[20:21], s[0:1], v[36:37]
	v_fma_f64 v[146:147], v[22:23], s[0:1], v[6:7]
	v_add_f64 v[164:165], v[52:53], v[62:63]
	v_add_f64 v[166:167], v[54:55], -v[60:61]
	v_fma_f64 v[188:189], v[30:31], s[2:3], v[132:133]
	v_fma_f64 v[190:191], v[28:29], s[0:1], v[134:135]
	;; [unrolled: 1-line block ×10, first 2 shown]
	v_add_f64 v[140:141], v[32:33], -v[56:57]
	v_add_f64 v[142:143], v[34:35], -v[58:59]
	v_fma_f64 v[148:149], v[22:23], s[2:3], v[144:145]
	v_fma_f64 v[150:151], v[20:21], s[0:1], v[146:147]
	v_fma_f64 v[152:153], v[14:15], 2.0, -v[188:189]
	v_fma_f64 v[154:155], v[12:13], 2.0, -v[190:191]
	v_fma_f64 v[144:145], v[42:43], 2.0, -v[192:193]
	v_fma_f64 v[146:147], v[40:41], 2.0, -v[194:195]
	v_fma_f64 v[136:137], v[18:19], s[12:13], v[168:169]
	v_fma_f64 v[138:139], v[16:17], s[14:15], v[170:171]
	v_fma_f64 v[168:169], v[52:53], 2.0, -v[164:165]
	v_fma_f64 v[170:171], v[54:55], 2.0, -v[166:167]
	;; [unrolled: 1-line block ×12, first 2 shown]
	ds_write_b128 v219, v[164:167] offset:192
	ds_write_b128 v219, v[188:191] offset:224
	;; [unrolled: 1-line block ×10, first 2 shown]
	ds_write_b128 v219, v[132:135]
	ds_write_b128 v219, v[180:183] offset:32
	ds_write_b128 v219, v[176:179] offset:48
	;; [unrolled: 1-line block ×5, first 2 shown]
	s_waitcnt lgkmcnt(0)
	s_barrier
	buffer_gl0_inv
	s_and_saveexec_b32 s0, vcc_lo
	s_cbranch_execz .LBB0_7
; %bb.6:
	ds_read_b128 v[132:135], v255
	ds_read_b128 v[184:187], v255 offset:256
	ds_read_b128 v[180:183], v255 offset:512
	;; [unrolled: 1-line block ×16, first 2 shown]
.LBB0_7:
	s_or_b32 exec_lo, exec_lo, s0
	s_and_saveexec_b32 s33, vcc_lo
	s_cbranch_execz .LBB0_9
; %bb.8:
	s_clause 0x3
	buffer_load_dword v2, off, s[56:59], 0 offset:280
	buffer_load_dword v3, off, s[56:59], 0 offset:284
	;; [unrolled: 1-line block ×4, first 2 shown]
	s_waitcnt lgkmcnt(12)
	v_mul_f64 v[6:7], v[90:91], v[168:169]
	s_waitcnt lgkmcnt(11)
	v_mul_f64 v[8:9], v[70:71], v[158:159]
	v_mul_f64 v[10:11], v[70:71], v[156:157]
	s_mov_b32 s2, 0xacd6c6b4
	s_mov_b32 s3, 0xbfc7851a
	s_waitcnt lgkmcnt(10)
	v_mul_f64 v[12:13], v[251:252], v[154:155]
	s_waitcnt lgkmcnt(5)
	v_mul_f64 v[14:15], v[74:75], v[160:161]
	v_mul_f64 v[16:17], v[86:87], v[146:147]
	s_mov_b32 s12, 0x5d8e7cdc
	s_mov_b32 s0, 0x7faef3
	s_mov_b32 s13, 0x3fd71e95
	s_mov_b32 s1, 0xbfef7484
	v_mul_f64 v[18:19], v[102:103], v[150:151]
	s_mov_b32 s16, 0x4363dd80
	s_mov_b32 s6, 0x370991
	s_mov_b32 s17, 0xbfe0d888
	s_mov_b32 s7, 0x3fedd6d0
	s_mov_b32 s14, 0x910ea3b9
	s_mov_b32 s22, 0x2a9d6da3
	s_mov_b32 s15, 0xbfeb34fa
	s_mov_b32 s23, 0x3fe58eea
	s_mov_b32 s18, 0x75d4884
	s_mov_b32 s19, 0x3fe7a5f6
	s_mov_b32 s24, 0x6c9a05f6
	s_mov_b32 s25, 0xbfe9895b
	s_mov_b32 s20, 0x6ed5f1bb
	s_mov_b32 s21, 0xbfe348c8
	s_mov_b32 s28, 0x7c9e640b
	s_mov_b32 s29, 0x3feca52d
	v_fma_f64 v[201:202], v[84:85], v[144:145], v[16:17]
	v_mul_f64 v[16:17], v[246:247], v[136:137]
	s_mov_b32 s26, 0x2b2883cd
	s_mov_b32 s27, 0x3fdc86fa
	;; [unrolled: 1-line block ×3, first 2 shown]
	v_fma_f64 v[199:200], v[100:101], v[148:149], v[18:19]
	s_mov_b32 s35, 0xbfeec746
	s_mov_b32 s30, 0xc61f0d01
	;; [unrolled: 1-line block ×17, first 2 shown]
	v_fma_f64 v[215:216], v[244:245], v[138:139], -v[16:17]
	s_mov_b32 s53, 0x3fe0d888
	s_mov_b32 s52, s16
	;; [unrolled: 1-line block ×4, first 2 shown]
	s_waitcnt vmcnt(0)
	v_mul_f64 v[0:1], v[4:5], v[186:187]
	v_fma_f64 v[197:198], v[2:3], v[184:185], v[0:1]
	v_mul_f64 v[0:1], v[4:5], v[184:185]
	v_mul_f64 v[4:5], v[90:91], v[170:171]
	v_add_f64 v[46:47], v[132:133], v[197:198]
	v_fma_f64 v[186:187], v[2:3], v[186:187], -v[0:1]
	s_waitcnt lgkmcnt(0)
	v_mul_f64 v[0:1], v[126:127], v[106:107]
	v_mul_f64 v[2:3], v[110:111], v[176:177]
	v_add_f64 v[44:45], v[134:135], v[186:187]
	v_fma_f64 v[184:185], v[124:125], v[104:105], v[0:1]
	v_mul_f64 v[0:1], v[126:127], v[104:105]
	v_add_f64 v[211:212], v[184:185], v[197:198]
	v_fma_f64 v[124:125], v[124:125], v[106:107], -v[0:1]
	v_mul_f64 v[0:1], v[118:119], v[182:183]
	v_fma_f64 v[126:127], v[116:117], v[180:181], v[0:1]
	v_mul_f64 v[0:1], v[118:119], v[180:181]
	v_add_f64 v[46:47], v[126:127], v[46:47]
	v_fma_f64 v[180:181], v[116:117], v[182:183], -v[0:1]
	v_mul_f64 v[0:1], v[122:123], v[194:195]
	v_fma_f64 v[182:183], v[88:89], v[168:169], v[4:5]
	v_mul_f64 v[4:5], v[78:79], v[166:167]
	v_add_f64 v[44:45], v[180:181], v[44:45]
	v_fma_f64 v[116:117], v[120:121], v[192:193], v[0:1]
	v_mul_f64 v[0:1], v[122:123], v[192:193]
	v_add_f64 v[192:193], v[186:187], -v[124:125]
	v_add_f64 v[106:107], v[116:117], v[126:127]
	v_fma_f64 v[118:119], v[120:121], v[194:195], -v[0:1]
	v_mul_f64 v[0:1], v[110:111], v[178:179]
	v_fma_f64 v[178:179], v[108:109], v[178:179], -v[2:3]
	v_mul_f64 v[2:3], v[114:115], v[188:189]
	v_add_f64 v[194:195], v[124:125], v[186:187]
	v_fma_f64 v[176:177], v[108:109], v[176:177], v[0:1]
	v_mul_f64 v[0:1], v[114:115], v[190:191]
	v_fma_f64 v[110:111], v[112:113], v[190:191], -v[2:3]
	v_mul_f64 v[2:3], v[94:95], v[172:173]
	v_add_f64 v[190:191], v[197:198], -v[184:185]
	v_add_f64 v[44:45], v[178:179], v[44:45]
	v_add_f64 v[46:47], v[176:177], v[46:47]
	v_fma_f64 v[108:109], v[112:113], v[188:189], v[0:1]
	v_mul_f64 v[0:1], v[94:95], v[174:175]
	v_fma_f64 v[188:189], v[88:89], v[170:171], -v[6:7]
	v_mul_f64 v[6:7], v[78:79], v[164:165]
	v_fma_f64 v[170:171], v[92:93], v[174:175], -v[2:3]
	;; [unrolled: 2-line block ×3, first 2 shown]
	v_add_f64 v[88:89], v[126:127], -v[116:117]
	v_mul_f64 v[10:11], v[98:99], v[140:141]
	v_fma_f64 v[162:163], v[72:73], v[162:163], -v[14:15]
	v_add_f64 v[94:95], v[118:119], v[180:181]
	v_add_f64 v[46:47], v[182:183], v[46:47]
	v_add_f64 v[90:91], v[176:177], -v[108:109]
	v_fma_f64 v[168:169], v[92:93], v[172:173], v[0:1]
	v_mul_f64 v[0:1], v[251:252], v[152:153]
	v_fma_f64 v[172:173], v[68:69], v[156:157], v[8:9]
	v_mul_f64 v[8:9], v[190:191], s[2:3]
	v_fma_f64 v[156:157], v[76:77], v[164:165], v[4:5]
	v_fma_f64 v[158:159], v[76:77], v[166:167], -v[6:7]
	v_mul_f64 v[4:5], v[86:87], v[144:145]
	v_fma_f64 v[160:161], v[72:73], v[160:161], v[2:3]
	v_add_f64 v[86:87], v[180:181], -v[118:119]
	v_mul_f64 v[2:3], v[192:193], s[2:3]
	v_mul_f64 v[6:7], v[98:99], v[142:143]
	v_fma_f64 v[164:165], v[249:250], v[152:153], v[12:13]
	v_mul_f64 v[12:13], v[88:89], s[12:13]
	v_fma_f64 v[209:210], v[96:97], v[142:143], -v[10:11]
	v_add_f64 v[114:115], v[108:109], v[176:177]
	v_add_f64 v[130:131], v[188:189], -v[170:171]
	v_mul_f64 v[239:240], v[88:89], s[46:47]
	v_add_f64 v[44:45], v[188:189], v[44:45]
	v_add_f64 v[92:93], v[182:183], -v[168:169]
	v_fma_f64 v[166:167], v[249:250], v[154:155], -v[0:1]
	v_mul_f64 v[0:1], v[102:103], v[148:149]
	v_fma_f64 v[14:15], v[194:195], s[0:1], v[8:9]
	v_add_f64 v[122:123], v[168:169], v[182:183]
	v_add_f64 v[128:129], v[172:173], -v[156:157]
	v_fma_f64 v[205:206], v[84:85], v[146:147], -v[4:5]
	v_mul_f64 v[4:5], v[246:247], v[138:139]
	v_add_f64 v[84:85], v[178:179], -v[110:111]
	v_fma_f64 v[10:11], v[211:212], s[0:1], -v[2:3]
	v_fma_f64 v[207:208], v[96:97], v[140:141], v[6:7]
	v_add_f64 v[96:97], v[110:111], v[178:179]
	v_mul_f64 v[6:7], v[90:91], s[16:17]
	v_fma_f64 v[18:19], v[94:95], s[6:7], v[12:13]
	v_add_f64 v[104:105], v[158:159], v[174:175]
	v_add_f64 v[140:141], v[174:175], -v[158:159]
	v_add_f64 v[120:121], v[156:157], v[172:173]
	v_add_f64 v[138:139], v[164:165], -v[160:161]
	v_add_f64 v[112:113], v[164:165], v[160:161]
	v_add_f64 v[148:149], v[199:200], v[201:202]
	;; [unrolled: 1-line block ×3, first 2 shown]
	v_add_f64 v[154:155], v[209:210], -v[215:216]
	v_mul_f64 v[16:17], v[92:93], s[22:23]
	v_add_f64 v[102:103], v[166:167], v[162:163]
	v_fma_f64 v[203:204], v[100:101], v[150:151], -v[0:1]
	v_mul_f64 v[0:1], v[86:87], s[12:13]
	v_add_f64 v[14:15], v[134:135], v[14:15]
	v_add_f64 v[100:101], v[170:171], v[188:189]
	v_add_f64 v[142:143], v[166:167], -v[162:163]
	v_fma_f64 v[213:214], v[244:245], v[136:137], v[4:5]
	v_mul_f64 v[4:5], v[84:85], s[16:17]
	v_add_f64 v[10:11], v[132:133], v[10:11]
	v_add_f64 v[136:137], v[201:202], -v[199:200]
	v_fma_f64 v[8:9], v[194:195], s[0:1], -v[8:9]
	v_fma_f64 v[22:23], v[96:97], s[14:15], v[6:7]
	v_fma_f64 v[2:3], v[211:212], s[0:1], v[2:3]
	v_mul_f64 v[247:248], v[190:191], s[24:25]
	v_mul_f64 v[245:246], v[192:193], s[24:25]
	;; [unrolled: 1-line block ×5, first 2 shown]
	v_add_f64 v[44:45], v[174:175], v[44:45]
	v_mul_f64 v[241:242], v[92:93], s[16:17]
	v_mul_f64 v[227:228], v[130:131], s[16:17]
	;; [unrolled: 1-line block ×3, first 2 shown]
	v_add_f64 v[46:47], v[172:173], v[46:47]
	v_add_f64 v[98:99], v[203:204], v[205:206]
	v_fma_f64 v[20:21], v[106:107], s[6:7], -v[0:1]
	v_add_f64 v[14:15], v[18:19], v[14:15]
	v_add_f64 v[152:153], v[205:206], -v[203:204]
	v_fma_f64 v[0:1], v[106:107], s[6:7], v[0:1]
	v_add_f64 v[150:151], v[207:208], -v[213:214]
	v_fma_f64 v[18:19], v[114:115], s[14:15], -v[4:5]
	v_add_f64 v[146:147], v[213:214], v[207:208]
	v_fma_f64 v[4:5], v[114:115], s[14:15], v[4:5]
	v_add_f64 v[8:9], v[134:135], v[8:9]
	v_mul_f64 v[225:226], v[140:141], s[40:41]
	v_add_f64 v[2:3], v[132:133], v[2:3]
	v_mul_f64 v[233:234], v[138:139], s[48:49]
	v_mul_f64 v[223:224], v[142:143], s[48:49]
	;; [unrolled: 1-line block ×4, first 2 shown]
	v_add_f64 v[44:45], v[166:167], v[44:45]
	v_add_f64 v[46:47], v[164:165], v[46:47]
	;; [unrolled: 1-line block ×3, first 2 shown]
	v_fma_f64 v[20:21], v[100:101], s[18:19], v[16:17]
	v_add_f64 v[14:15], v[22:23], v[14:15]
	v_mul_f64 v[221:222], v[152:153], s[2:3]
	v_mul_f64 v[217:218], v[150:151], s[28:29]
	v_add_f64 v[0:1], v[0:1], v[2:3]
	v_fma_f64 v[2:3], v[96:97], s[14:15], -v[6:7]
	v_add_f64 v[44:45], v[205:206], v[44:45]
	v_add_f64 v[46:47], v[201:202], v[46:47]
	;; [unrolled: 1-line block ×3, first 2 shown]
	v_mul_f64 v[18:19], v[130:131], s[22:23]
	v_add_f64 v[14:15], v[20:21], v[14:15]
	v_add_f64 v[0:1], v[4:5], v[0:1]
	v_fma_f64 v[4:5], v[100:101], s[18:19], -v[16:17]
	v_add_f64 v[44:45], v[209:210], v[44:45]
	v_add_f64 v[46:47], v[207:208], v[46:47]
	v_fma_f64 v[20:21], v[122:123], s[18:19], -v[18:19]
	v_add_f64 v[44:45], v[215:216], v[44:45]
	v_add_f64 v[46:47], v[213:214], v[46:47]
	;; [unrolled: 1-line block ×3, first 2 shown]
	v_mul_f64 v[20:21], v[128:129], s[24:25]
	v_add_f64 v[44:45], v[203:204], v[44:45]
	v_add_f64 v[46:47], v[199:200], v[46:47]
	v_fma_f64 v[22:23], v[104:105], s[20:21], v[20:21]
	v_add_f64 v[44:45], v[162:163], v[44:45]
	v_add_f64 v[46:47], v[160:161], v[46:47]
	;; [unrolled: 1-line block ×3, first 2 shown]
	v_mul_f64 v[22:23], v[140:141], s[24:25]
	v_add_f64 v[44:45], v[158:159], v[44:45]
	v_add_f64 v[46:47], v[156:157], v[46:47]
	v_fma_f64 v[24:25], v[120:121], s[20:21], -v[22:23]
	v_add_f64 v[44:45], v[170:171], v[44:45]
	v_add_f64 v[46:47], v[168:169], v[46:47]
	;; [unrolled: 1-line block ×3, first 2 shown]
	v_mul_f64 v[24:25], v[138:139], s[28:29]
	v_add_f64 v[44:45], v[110:111], v[44:45]
	v_add_f64 v[46:47], v[108:109], v[46:47]
	v_fma_f64 v[26:27], v[102:103], s[26:27], v[24:25]
	v_add_f64 v[44:45], v[118:119], v[44:45]
	v_add_f64 v[46:47], v[116:117], v[46:47]
	;; [unrolled: 1-line block ×3, first 2 shown]
	v_mul_f64 v[26:27], v[142:143], s[28:29]
	v_add_f64 v[110:111], v[124:125], v[44:45]
	v_fma_f64 v[44:45], v[94:95], s[30:31], -v[239:240]
	v_add_f64 v[108:109], v[184:185], v[46:47]
	v_fma_f64 v[28:29], v[112:113], s[26:27], -v[26:27]
	v_add_f64 v[10:11], v[28:29], v[10:11]
	v_mul_f64 v[28:29], v[136:137], s[34:35]
	v_fma_f64 v[30:31], v[98:99], s[30:31], v[28:29]
	v_add_f64 v[14:15], v[30:31], v[14:15]
	v_mul_f64 v[30:31], v[152:153], s[34:35]
	v_fma_f64 v[32:33], v[148:149], s[30:31], -v[30:31]
	v_add_f64 v[10:11], v[32:33], v[10:11]
	v_mul_f64 v[32:33], v[150:151], s[40:41]
	v_fma_f64 v[34:35], v[144:145], s[36:37], v[32:33]
	v_add_f64 v[66:67], v[34:35], v[14:15]
	v_mul_f64 v[14:15], v[154:155], s[40:41]
	v_fma_f64 v[34:35], v[146:147], s[36:37], -v[14:15]
	v_fma_f64 v[6:7], v[146:147], s[36:37], v[14:15]
	v_add_f64 v[64:65], v[34:35], v[10:11]
	v_fma_f64 v[10:11], v[94:95], s[6:7], -v[12:13]
	v_add_f64 v[8:9], v[10:11], v[8:9]
	v_mul_f64 v[10:11], v[86:87], s[28:29]
	v_add_f64 v[2:3], v[2:3], v[8:9]
	v_fma_f64 v[12:13], v[106:107], s[26:27], -v[10:11]
	v_add_f64 v[2:3], v[4:5], v[2:3]
	v_fma_f64 v[4:5], v[122:123], s[18:19], v[18:19]
	v_add_f64 v[0:1], v[4:5], v[0:1]
	v_fma_f64 v[4:5], v[104:105], s[20:21], -v[20:21]
	v_add_f64 v[2:3], v[4:5], v[2:3]
	v_fma_f64 v[4:5], v[120:121], s[20:21], v[22:23]
	;; [unrolled: 4-line block ×4, first 2 shown]
	v_add_f64 v[0:1], v[4:5], v[0:1]
	v_fma_f64 v[4:5], v[144:145], s[36:37], -v[32:33]
	v_add_f64 v[68:69], v[6:7], v[0:1]
	v_mul_f64 v[0:1], v[190:191], s[16:17]
	v_add_f64 v[70:71], v[4:5], v[2:3]
	v_mul_f64 v[4:5], v[88:89], s[28:29]
	v_fma_f64 v[2:3], v[194:195], s[14:15], v[0:1]
	v_fma_f64 v[0:1], v[194:195], s[14:15], -v[0:1]
	v_fma_f64 v[6:7], v[94:95], s[26:27], v[4:5]
	v_fma_f64 v[4:5], v[94:95], s[26:27], -v[4:5]
	v_add_f64 v[2:3], v[134:135], v[2:3]
	v_add_f64 v[0:1], v[134:135], v[0:1]
	;; [unrolled: 1-line block ×3, first 2 shown]
	v_mul_f64 v[6:7], v[192:193], s[16:17]
	v_add_f64 v[0:1], v[4:5], v[0:1]
	v_fma_f64 v[8:9], v[211:212], s[14:15], -v[6:7]
	v_fma_f64 v[4:5], v[211:212], s[14:15], v[6:7]
	v_fma_f64 v[6:7], v[106:107], s[26:27], v[10:11]
	v_fma_f64 v[10:11], v[194:195], s[20:21], -v[247:248]
	v_add_f64 v[8:9], v[132:133], v[8:9]
	v_add_f64 v[4:5], v[132:133], v[4:5]
	;; [unrolled: 1-line block ×4, first 2 shown]
	v_mul_f64 v[12:13], v[90:91], s[38:39]
	v_add_f64 v[4:5], v[6:7], v[4:5]
	v_add_f64 v[10:11], v[44:45], v[10:11]
	v_fma_f64 v[44:45], v[96:97], s[6:7], -v[243:244]
	v_fma_f64 v[14:15], v[96:97], s[36:37], v[12:13]
	v_fma_f64 v[6:7], v[96:97], s[36:37], -v[12:13]
	v_add_f64 v[10:11], v[44:45], v[10:11]
	v_mul_f64 v[44:45], v[88:89], s[52:53]
	v_add_f64 v[2:3], v[14:15], v[2:3]
	v_mul_f64 v[14:15], v[84:85], s[38:39]
	v_add_f64 v[0:1], v[6:7], v[0:1]
	v_fma_f64 v[46:47], v[94:95], s[14:15], -v[44:45]
	v_fma_f64 v[44:45], v[94:95], s[14:15], v[44:45]
	v_fma_f64 v[16:17], v[114:115], s[36:37], -v[14:15]
	v_fma_f64 v[6:7], v[114:115], s[36:37], v[14:15]
	v_add_f64 v[8:9], v[16:17], v[8:9]
	v_mul_f64 v[16:17], v[92:93], s[44:45]
	v_add_f64 v[4:5], v[6:7], v[4:5]
	v_fma_f64 v[18:19], v[100:101], s[20:21], v[16:17]
	v_fma_f64 v[6:7], v[100:101], s[20:21], -v[16:17]
	v_add_f64 v[2:3], v[18:19], v[2:3]
	v_mul_f64 v[18:19], v[130:131], s[44:45]
	v_add_f64 v[0:1], v[6:7], v[0:1]
	v_fma_f64 v[20:21], v[122:123], s[20:21], -v[18:19]
	v_fma_f64 v[6:7], v[122:123], s[20:21], v[18:19]
	v_add_f64 v[8:9], v[20:21], v[8:9]
	v_mul_f64 v[20:21], v[128:129], s[42:43]
	v_add_f64 v[4:5], v[6:7], v[4:5]
	v_fma_f64 v[22:23], v[104:105], s[6:7], v[20:21]
	v_fma_f64 v[6:7], v[104:105], s[6:7], -v[20:21]
	v_add_f64 v[2:3], v[22:23], v[2:3]
	v_mul_f64 v[22:23], v[140:141], s[42:43]
	v_add_f64 v[0:1], v[6:7], v[0:1]
	v_fma_f64 v[24:25], v[120:121], s[6:7], -v[22:23]
	v_fma_f64 v[6:7], v[120:121], s[6:7], v[22:23]
	v_mul_f64 v[22:23], v[192:193], s[34:35]
	v_add_f64 v[8:9], v[24:25], v[8:9]
	v_mul_f64 v[24:25], v[138:139], s[2:3]
	v_add_f64 v[4:5], v[6:7], v[4:5]
	v_fma_f64 v[26:27], v[102:103], s[0:1], v[24:25]
	v_fma_f64 v[6:7], v[102:103], s[0:1], -v[24:25]
	v_mul_f64 v[24:25], v[192:193], s[38:39]
	v_add_f64 v[2:3], v[26:27], v[2:3]
	v_mul_f64 v[26:27], v[142:143], s[2:3]
	v_add_f64 v[0:1], v[6:7], v[0:1]
	v_fma_f64 v[36:37], v[211:212], s[36:37], -v[24:25]
	v_fma_f64 v[24:25], v[211:212], s[36:37], v[24:25]
	v_fma_f64 v[28:29], v[112:113], s[0:1], -v[26:27]
	v_fma_f64 v[6:7], v[112:113], s[0:1], v[26:27]
	v_add_f64 v[36:37], v[132:133], v[36:37]
	v_add_f64 v[24:25], v[132:133], v[24:25]
	v_mul_f64 v[26:27], v[192:193], s[50:51]
	v_add_f64 v[8:9], v[28:29], v[8:9]
	v_mul_f64 v[28:29], v[136:137], s[22:23]
	v_add_f64 v[4:5], v[6:7], v[4:5]
	v_fma_f64 v[38:39], v[211:212], s[26:27], -v[26:27]
	v_fma_f64 v[26:27], v[211:212], s[26:27], v[26:27]
	v_fma_f64 v[30:31], v[98:99], s[18:19], v[28:29]
	v_fma_f64 v[6:7], v[98:99], s[18:19], -v[28:29]
	v_mul_f64 v[28:29], v[192:193], s[48:49]
	v_add_f64 v[38:39], v[132:133], v[38:39]
	v_add_f64 v[26:27], v[132:133], v[26:27]
	;; [unrolled: 1-line block ×3, first 2 shown]
	v_mul_f64 v[30:31], v[152:153], s[22:23]
	v_add_f64 v[0:1], v[6:7], v[0:1]
	v_fma_f64 v[40:41], v[211:212], s[18:19], v[28:29]
	v_fma_f64 v[28:29], v[211:212], s[18:19], -v[28:29]
	v_fma_f64 v[32:33], v[148:149], s[18:19], -v[30:31]
	v_fma_f64 v[6:7], v[148:149], s[18:19], v[30:31]
	v_mul_f64 v[30:31], v[192:193], s[42:43]
	v_add_f64 v[28:29], v[132:133], v[28:29]
	v_add_f64 v[40:41], v[132:133], v[40:41]
	;; [unrolled: 1-line block ×3, first 2 shown]
	v_mul_f64 v[32:33], v[150:151], s[34:35]
	v_add_f64 v[4:5], v[6:7], v[4:5]
	v_fma_f64 v[42:43], v[211:212], s[6:7], v[30:31]
	v_fma_f64 v[30:31], v[211:212], s[6:7], -v[30:31]
	v_fma_f64 v[34:35], v[144:145], s[30:31], v[32:33]
	v_fma_f64 v[6:7], v[144:145], s[30:31], -v[32:33]
	v_fma_f64 v[32:33], v[211:212], s[20:21], v[245:246]
	v_add_f64 v[42:43], v[132:133], v[42:43]
	v_add_f64 v[30:31], v[132:133], v[30:31]
	;; [unrolled: 1-line block ×3, first 2 shown]
	v_mul_f64 v[2:3], v[154:155], s[34:35]
	v_add_f64 v[78:79], v[6:7], v[0:1]
	v_fma_f64 v[0:1], v[194:195], s[20:21], v[247:248]
	v_add_f64 v[32:33], v[132:133], v[32:33]
	v_mul_f64 v[6:7], v[190:191], s[48:49]
	v_fma_f64 v[34:35], v[146:147], s[30:31], -v[2:3]
	v_fma_f64 v[2:3], v[146:147], s[30:31], v[2:3]
	v_add_f64 v[0:1], v[134:135], v[0:1]
	v_fma_f64 v[18:19], v[194:195], s[18:19], -v[6:7]
	v_fma_f64 v[6:7], v[194:195], s[18:19], v[6:7]
	v_add_f64 v[72:73], v[34:35], v[8:9]
	v_add_f64 v[76:77], v[2:3], v[4:5]
	v_fma_f64 v[2:3], v[94:95], s[30:31], v[239:240]
	v_fma_f64 v[4:5], v[106:107], s[30:31], -v[235:236]
	v_fma_f64 v[34:35], v[211:212], s[30:31], -v[22:23]
	v_fma_f64 v[22:23], v[211:212], s[30:31], v[22:23]
	v_mul_f64 v[8:9], v[190:191], s[42:43]
	v_add_f64 v[18:19], v[134:135], v[18:19]
	v_add_f64 v[6:7], v[134:135], v[6:7]
	;; [unrolled: 1-line block ×3, first 2 shown]
	v_fma_f64 v[2:3], v[211:212], s[20:21], -v[245:246]
	v_add_f64 v[34:35], v[132:133], v[34:35]
	v_add_f64 v[22:23], v[132:133], v[22:23]
	v_fma_f64 v[20:21], v[194:195], s[6:7], -v[8:9]
	v_fma_f64 v[8:9], v[194:195], s[6:7], v[8:9]
	v_add_f64 v[2:3], v[132:133], v[2:3]
	v_add_f64 v[20:21], v[134:135], v[20:21]
	;; [unrolled: 1-line block ×4, first 2 shown]
	v_fma_f64 v[4:5], v[96:97], s[6:7], v[243:244]
	v_add_f64 v[0:1], v[4:5], v[0:1]
	v_fma_f64 v[4:5], v[114:115], s[6:7], -v[231:232]
	v_add_f64 v[2:3], v[4:5], v[2:3]
	v_fma_f64 v[4:5], v[100:101], s[14:15], v[241:242]
	v_add_f64 v[0:1], v[4:5], v[0:1]
	v_fma_f64 v[4:5], v[122:123], s[14:15], -v[227:228]
	v_add_f64 v[2:3], v[4:5], v[2:3]
	;; [unrolled: 4-line block ×5, first 2 shown]
	v_fma_f64 v[4:5], v[144:145], s[26:27], v[217:218]
	v_add_f64 v[82:83], v[4:5], v[0:1]
	v_fma_f64 v[0:1], v[146:147], s[26:27], -v[219:220]
	v_mul_f64 v[4:5], v[190:191], s[50:51]
	v_add_f64 v[80:81], v[0:1], v[2:3]
	v_mul_f64 v[0:1], v[190:191], s[34:35]
	v_mul_f64 v[2:3], v[190:191], s[38:39]
	v_fma_f64 v[16:17], v[194:195], s[26:27], v[4:5]
	v_fma_f64 v[4:5], v[194:195], s[26:27], -v[4:5]
	v_fma_f64 v[12:13], v[194:195], s[30:31], -v[0:1]
	v_fma_f64 v[0:1], v[194:195], s[30:31], v[0:1]
	v_fma_f64 v[14:15], v[194:195], s[36:37], v[2:3]
	v_fma_f64 v[2:3], v[194:195], s[36:37], -v[2:3]
	v_add_f64 v[16:17], v[134:135], v[16:17]
	v_add_f64 v[4:5], v[134:135], v[4:5]
	;; [unrolled: 1-line block ×7, first 2 shown]
	v_fma_f64 v[46:47], v[106:107], s[30:31], v[235:236]
	v_add_f64 v[0:1], v[44:45], v[0:1]
	v_mul_f64 v[44:45], v[86:87], s[52:53]
	v_add_f64 v[32:33], v[46:47], v[32:33]
	v_fma_f64 v[46:47], v[100:101], s[14:15], -v[241:242]
	v_add_f64 v[10:11], v[46:47], v[10:11]
	v_fma_f64 v[46:47], v[106:107], s[14:15], -v[44:45]
	v_fma_f64 v[44:45], v[106:107], s[14:15], v[44:45]
	v_add_f64 v[34:35], v[46:47], v[34:35]
	v_mul_f64 v[46:47], v[90:91], s[22:23]
	v_add_f64 v[22:23], v[44:45], v[22:23]
	v_fma_f64 v[44:45], v[112:113], s[18:19], v[223:224]
	v_fma_f64 v[48:49], v[96:97], s[18:19], -v[46:47]
	v_fma_f64 v[46:47], v[96:97], s[18:19], v[46:47]
	v_add_f64 v[12:13], v[48:49], v[12:13]
	v_fma_f64 v[48:49], v[114:115], s[6:7], v[231:232]
	v_add_f64 v[0:1], v[46:47], v[0:1]
	v_mul_f64 v[46:47], v[84:85], s[22:23]
	v_add_f64 v[32:33], v[48:49], v[32:33]
	v_fma_f64 v[48:49], v[104:105], s[36:37], -v[237:238]
	v_add_f64 v[10:11], v[48:49], v[10:11]
	v_fma_f64 v[48:49], v[114:115], s[18:19], -v[46:47]
	v_fma_f64 v[46:47], v[114:115], s[18:19], v[46:47]
	v_add_f64 v[34:35], v[48:49], v[34:35]
	v_mul_f64 v[48:49], v[92:93], s[50:51]
	v_add_f64 v[22:23], v[46:47], v[22:23]
	v_fma_f64 v[46:47], v[148:149], s[0:1], v[221:222]
	v_fma_f64 v[50:51], v[100:101], s[26:27], -v[48:49]
	v_fma_f64 v[48:49], v[100:101], s[26:27], v[48:49]
	v_add_f64 v[12:13], v[50:51], v[12:13]
	v_fma_f64 v[50:51], v[122:123], s[14:15], v[227:228]
	v_add_f64 v[0:1], v[48:49], v[0:1]
	v_mul_f64 v[48:49], v[130:131], s[50:51]
	v_add_f64 v[32:33], v[50:51], v[32:33]
	v_fma_f64 v[50:51], v[102:103], s[18:19], -v[233:234]
	v_add_f64 v[10:11], v[50:51], v[10:11]
	v_fma_f64 v[50:51], v[122:123], s[26:27], -v[48:49]
	v_fma_f64 v[48:49], v[122:123], s[26:27], v[48:49]
	v_add_f64 v[34:35], v[50:51], v[34:35]
	v_mul_f64 v[50:51], v[128:129], s[2:3]
	v_add_f64 v[22:23], v[48:49], v[22:23]
	v_fma_f64 v[52:53], v[104:105], s[0:1], -v[50:51]
	v_fma_f64 v[50:51], v[104:105], s[0:1], v[50:51]
	v_add_f64 v[12:13], v[52:53], v[12:13]
	v_fma_f64 v[52:53], v[120:121], s[36:37], v[225:226]
	v_add_f64 v[0:1], v[50:51], v[0:1]
	v_mul_f64 v[50:51], v[140:141], s[2:3]
	v_add_f64 v[32:33], v[52:53], v[32:33]
	v_fma_f64 v[52:53], v[98:99], s[0:1], -v[229:230]
	v_add_f64 v[32:33], v[44:45], v[32:33]
	v_add_f64 v[10:11], v[52:53], v[10:11]
	v_fma_f64 v[52:53], v[120:121], s[0:1], -v[50:51]
	v_fma_f64 v[50:51], v[120:121], s[0:1], v[50:51]
	v_add_f64 v[32:33], v[46:47], v[32:33]
	v_mul_f64 v[46:47], v[88:89], s[2:3]
	v_add_f64 v[34:35], v[52:53], v[34:35]
	v_mul_f64 v[52:53], v[138:139], s[40:41]
	v_add_f64 v[22:23], v[50:51], v[22:23]
	v_fma_f64 v[44:45], v[102:103], s[36:37], v[52:53]
	v_fma_f64 v[54:55], v[102:103], s[36:37], -v[52:53]
	v_add_f64 v[0:1], v[44:45], v[0:1]
	v_mul_f64 v[44:45], v[142:143], s[40:41]
	v_add_f64 v[12:13], v[54:55], v[12:13]
	s_mov_b32 s41, 0x3fc7851a
	s_mov_b32 s40, s2
	v_fma_f64 v[52:53], v[112:113], s[36:37], -v[44:45]
	v_fma_f64 v[44:45], v[112:113], s[36:37], v[44:45]
	v_add_f64 v[34:35], v[52:53], v[34:35]
	v_mul_f64 v[52:53], v[136:137], s[42:43]
	v_add_f64 v[22:23], v[44:45], v[22:23]
	v_mul_f64 v[44:45], v[86:87], s[24:25]
	v_fma_f64 v[54:55], v[98:99], s[6:7], -v[52:53]
	v_fma_f64 v[52:53], v[98:99], s[6:7], v[52:53]
	v_add_f64 v[12:13], v[54:55], v[12:13]
	v_fma_f64 v[54:55], v[94:95], s[0:1], v[46:47]
	v_fma_f64 v[46:47], v[94:95], s[0:1], -v[46:47]
	v_add_f64 v[0:1], v[52:53], v[0:1]
	v_mul_f64 v[52:53], v[152:153], s[42:43]
	v_add_f64 v[14:15], v[54:55], v[14:15]
	v_add_f64 v[2:3], v[46:47], v[2:3]
	v_mul_f64 v[46:47], v[90:91], s[46:47]
	v_fma_f64 v[54:55], v[148:149], s[6:7], -v[52:53]
	v_fma_f64 v[48:49], v[96:97], s[30:31], v[46:47]
	v_fma_f64 v[46:47], v[96:97], s[30:31], -v[46:47]
	v_add_f64 v[34:35], v[54:55], v[34:35]
	v_mul_f64 v[54:55], v[86:87], s[2:3]
	v_add_f64 v[14:15], v[48:49], v[14:15]
	v_add_f64 v[2:3], v[46:47], v[2:3]
	v_mul_f64 v[46:47], v[92:93], s[12:13]
	v_fma_f64 v[56:57], v[106:107], s[0:1], -v[54:55]
	v_mul_f64 v[48:49], v[84:85], s[46:47]
	v_fma_f64 v[50:51], v[100:101], s[6:7], v[46:47]
	v_add_f64 v[36:37], v[56:57], v[36:37]
	v_fma_f64 v[56:57], v[114:115], s[30:31], -v[48:49]
	v_fma_f64 v[48:49], v[114:115], s[30:31], v[48:49]
	v_fma_f64 v[46:47], v[100:101], s[6:7], -v[46:47]
	v_add_f64 v[14:15], v[50:51], v[14:15]
	v_fma_f64 v[50:51], v[106:107], s[0:1], v[54:55]
	v_add_f64 v[36:37], v[56:57], v[36:37]
	v_add_f64 v[2:3], v[46:47], v[2:3]
	v_mul_f64 v[46:47], v[128:129], s[50:51]
	v_add_f64 v[24:25], v[50:51], v[24:25]
	v_mul_f64 v[50:51], v[88:89], s[24:25]
	v_add_f64 v[24:25], v[48:49], v[24:25]
	v_fma_f64 v[54:55], v[94:95], s[20:21], v[50:51]
	v_fma_f64 v[50:51], v[94:95], s[20:21], -v[50:51]
	v_mul_f64 v[48:49], v[90:91], s[40:41]
	v_add_f64 v[16:17], v[54:55], v[16:17]
	v_mul_f64 v[54:55], v[130:131], s[12:13]
	v_add_f64 v[4:5], v[50:51], v[4:5]
	v_fma_f64 v[50:51], v[96:97], s[0:1], v[48:49]
	v_fma_f64 v[48:49], v[96:97], s[0:1], -v[48:49]
	v_fma_f64 v[56:57], v[122:123], s[6:7], -v[54:55]
	v_add_f64 v[16:17], v[50:51], v[16:17]
	v_mul_f64 v[50:51], v[140:141], s[50:51]
	v_add_f64 v[4:5], v[48:49], v[4:5]
	v_fma_f64 v[48:49], v[122:123], s[6:7], v[54:55]
	v_add_f64 v[36:37], v[56:57], v[36:37]
	v_fma_f64 v[56:57], v[106:107], s[20:21], -v[44:45]
	v_fma_f64 v[44:45], v[106:107], s[20:21], v[44:45]
	v_add_f64 v[24:25], v[48:49], v[24:25]
	v_mul_f64 v[48:49], v[92:93], s[46:47]
	v_add_f64 v[38:39], v[56:57], v[38:39]
	v_fma_f64 v[56:57], v[104:105], s[26:27], v[46:47]
	v_fma_f64 v[46:47], v[104:105], s[26:27], -v[46:47]
	v_add_f64 v[26:27], v[44:45], v[26:27]
	v_mul_f64 v[44:45], v[130:131], s[46:47]
	v_fma_f64 v[54:55], v[100:101], s[30:31], v[48:49]
	v_fma_f64 v[48:49], v[100:101], s[30:31], -v[48:49]
	v_add_f64 v[14:15], v[56:57], v[14:15]
	v_fma_f64 v[56:57], v[120:121], s[26:27], -v[50:51]
	v_add_f64 v[2:3], v[46:47], v[2:3]
	v_mul_f64 v[46:47], v[138:139], s[16:17]
	v_add_f64 v[16:17], v[54:55], v[16:17]
	v_add_f64 v[4:5], v[48:49], v[4:5]
	v_fma_f64 v[48:49], v[120:121], s[26:27], v[50:51]
	v_mul_f64 v[54:55], v[142:143], s[16:17]
	v_add_f64 v[36:37], v[56:57], v[36:37]
	v_mul_f64 v[56:57], v[84:85], s[40:41]
	v_add_f64 v[24:25], v[48:49], v[24:25]
	v_mul_f64 v[48:49], v[128:129], s[22:23]
	v_fma_f64 v[58:59], v[114:115], s[0:1], -v[56:57]
	v_fma_f64 v[50:51], v[104:105], s[18:19], v[48:49]
	v_add_f64 v[38:39], v[58:59], v[38:39]
	v_fma_f64 v[58:59], v[102:103], s[14:15], v[46:47]
	v_fma_f64 v[46:47], v[102:103], s[14:15], -v[46:47]
	v_add_f64 v[16:17], v[50:51], v[16:17]
	v_mul_f64 v[50:51], v[152:153], s[44:45]
	v_add_f64 v[14:15], v[58:59], v[14:15]
	v_add_f64 v[2:3], v[46:47], v[2:3]
	v_fma_f64 v[46:47], v[148:149], s[6:7], v[52:53]
	v_fma_f64 v[58:59], v[112:113], s[14:15], -v[54:55]
	v_add_f64 v[22:23], v[46:47], v[22:23]
	v_mul_f64 v[46:47], v[136:137], s[44:45]
	v_add_f64 v[36:37], v[58:59], v[36:37]
	v_fma_f64 v[58:59], v[122:123], s[30:31], -v[44:45]
	v_fma_f64 v[44:45], v[122:123], s[30:31], v[44:45]
	v_fma_f64 v[52:53], v[98:99], s[20:21], v[46:47]
	v_fma_f64 v[46:47], v[98:99], s[20:21], -v[46:47]
	v_add_f64 v[38:39], v[58:59], v[38:39]
	v_add_f64 v[14:15], v[52:53], v[14:15]
	;; [unrolled: 1-line block ×3, first 2 shown]
	v_fma_f64 v[46:47], v[104:105], s[18:19], -v[48:49]
	v_fma_f64 v[52:53], v[148:149], s[20:21], -v[50:51]
	v_fma_f64 v[50:51], v[148:149], s[20:21], v[50:51]
	v_add_f64 v[4:5], v[46:47], v[4:5]
	v_fma_f64 v[46:47], v[112:113], s[14:15], v[54:55]
	v_add_f64 v[36:37], v[52:53], v[36:37]
	v_fma_f64 v[52:53], v[114:115], s[0:1], v[56:57]
	v_mul_f64 v[54:55], v[86:87], s[38:39]
	v_add_f64 v[24:25], v[46:47], v[24:25]
	v_mul_f64 v[46:47], v[138:139], s[42:43]
	v_add_f64 v[26:27], v[52:53], v[26:27]
	v_mul_f64 v[52:53], v[140:141], s[22:23]
	v_fma_f64 v[58:59], v[106:107], s[36:37], v[54:55]
	v_fma_f64 v[54:55], v[106:107], s[36:37], -v[54:55]
	v_add_f64 v[24:25], v[50:51], v[24:25]
	v_fma_f64 v[48:49], v[102:103], s[6:7], v[46:47]
	v_fma_f64 v[46:47], v[102:103], s[6:7], -v[46:47]
	v_fma_f64 v[56:57], v[120:121], s[18:19], -v[52:53]
	v_add_f64 v[26:27], v[44:45], v[26:27]
	v_mul_f64 v[44:45], v[142:143], s[42:43]
	v_add_f64 v[28:29], v[54:55], v[28:29]
	v_add_f64 v[40:41], v[58:59], v[40:41]
	v_mul_f64 v[58:59], v[84:85], s[50:51]
	v_add_f64 v[16:17], v[48:49], v[16:17]
	v_add_f64 v[4:5], v[46:47], v[4:5]
	v_fma_f64 v[46:47], v[120:121], s[18:19], v[52:53]
	v_add_f64 v[38:39], v[56:57], v[38:39]
	v_fma_f64 v[48:49], v[112:113], s[6:7], -v[44:45]
	v_mul_f64 v[56:57], v[86:87], s[48:49]
	v_fma_f64 v[44:45], v[112:113], s[6:7], v[44:45]
	v_fma_f64 v[62:63], v[114:115], s[26:27], v[58:59]
	v_fma_f64 v[58:59], v[114:115], s[26:27], -v[58:59]
	v_add_f64 v[26:27], v[46:47], v[26:27]
	v_mul_f64 v[46:47], v[88:89], s[38:39]
	v_add_f64 v[38:39], v[48:49], v[38:39]
	v_fma_f64 v[60:61], v[106:107], s[18:19], v[56:57]
	v_fma_f64 v[56:57], v[106:107], s[18:19], -v[56:57]
	v_fma_f64 v[106:107], v[144:145], s[26:27], -v[217:218]
	v_add_f64 v[26:27], v[44:45], v[26:27]
	v_fma_f64 v[48:49], v[94:95], s[36:37], -v[46:47]
	v_fma_f64 v[46:47], v[94:95], s[36:37], v[46:47]
	v_add_f64 v[42:43], v[60:61], v[42:43]
	v_add_f64 v[30:31], v[56:57], v[30:31]
	v_mul_f64 v[56:57], v[130:131], s[38:39]
	v_add_f64 v[18:19], v[48:49], v[18:19]
	v_mul_f64 v[48:49], v[88:89], s[48:49]
	v_add_f64 v[6:7], v[46:47], v[6:7]
	v_mul_f64 v[46:47], v[90:91], s[24:25]
	v_add_f64 v[42:43], v[62:63], v[42:43]
	v_fma_f64 v[62:63], v[122:123], s[36:37], v[56:57]
	v_add_f64 v[30:31], v[58:59], v[30:31]
	v_fma_f64 v[56:57], v[122:123], s[36:37], -v[56:57]
	v_mul_f64 v[88:89], v[142:143], s[24:25]
	v_fma_f64 v[52:53], v[94:95], s[18:19], -v[48:49]
	v_fma_f64 v[48:49], v[94:95], s[18:19], v[48:49]
	v_mul_f64 v[94:95], v[152:153], s[28:29]
	v_add_f64 v[42:43], v[62:63], v[42:43]
	v_mul_f64 v[62:63], v[140:141], s[52:53]
	v_add_f64 v[30:31], v[56:57], v[30:31]
	;; [unrolled: 2-line block ×3, first 2 shown]
	v_fma_f64 v[52:53], v[96:97], s[20:21], -v[46:47]
	v_fma_f64 v[46:47], v[96:97], s[20:21], v[46:47]
	v_add_f64 v[8:9], v[48:49], v[8:9]
	v_mul_f64 v[48:49], v[84:85], s[24:25]
	v_add_f64 v[18:19], v[52:53], v[18:19]
	v_add_f64 v[6:7], v[46:47], v[6:7]
	v_mul_f64 v[46:47], v[92:93], s[2:3]
	v_fma_f64 v[60:61], v[114:115], s[20:21], v[48:49]
	v_fma_f64 v[48:49], v[114:115], s[20:21], -v[48:49]
	v_mul_f64 v[52:53], v[90:91], s[50:51]
	v_mul_f64 v[90:91], v[142:143], s[46:47]
	v_fma_f64 v[114:115], v[146:147], s[26:27], v[219:220]
	v_add_f64 v[40:41], v[60:61], v[40:41]
	v_add_f64 v[28:29], v[48:49], v[28:29]
	v_fma_f64 v[48:49], v[100:101], s[0:1], -v[46:47]
	v_fma_f64 v[54:55], v[96:97], s[26:27], -v[52:53]
	v_fma_f64 v[52:53], v[96:97], s[26:27], v[52:53]
	v_fma_f64 v[46:47], v[100:101], s[0:1], v[46:47]
	v_add_f64 v[18:19], v[48:49], v[18:19]
	v_mul_f64 v[48:49], v[92:93], s[38:39]
	v_add_f64 v[20:21], v[54:55], v[20:21]
	v_add_f64 v[8:9], v[52:53], v[8:9]
	v_mul_f64 v[52:53], v[130:131], s[2:3]
	v_add_f64 v[6:7], v[46:47], v[6:7]
	v_mul_f64 v[46:47], v[140:141], s[34:35]
	v_fma_f64 v[54:55], v[100:101], s[36:37], -v[48:49]
	v_fma_f64 v[48:49], v[100:101], s[36:37], v[48:49]
	v_mul_f64 v[100:101], v[152:153], s[38:39]
	v_fma_f64 v[60:61], v[122:123], s[0:1], v[52:53]
	v_fma_f64 v[52:53], v[122:123], s[0:1], -v[52:53]
	v_fma_f64 v[84:85], v[120:121], s[30:31], v[46:47]
	v_fma_f64 v[46:47], v[120:121], s[30:31], -v[46:47]
	v_add_f64 v[20:21], v[54:55], v[20:21]
	v_mul_f64 v[54:55], v[128:129], s[52:53]
	v_add_f64 v[8:9], v[48:49], v[8:9]
	v_add_f64 v[40:41], v[60:61], v[40:41]
	v_mul_f64 v[60:61], v[128:129], s[34:35]
	v_add_f64 v[28:29], v[52:53], v[28:29]
	v_mul_f64 v[52:53], v[138:139], s[46:47]
	v_fma_f64 v[48:49], v[120:121], s[14:15], v[62:63]
	v_fma_f64 v[62:63], v[120:121], s[14:15], -v[62:63]
	v_add_f64 v[42:43], v[84:85], v[42:43]
	v_mul_f64 v[84:85], v[136:137], s[28:29]
	v_add_f64 v[30:31], v[46:47], v[30:31]
	v_mul_f64 v[46:47], v[150:151], s[24:25]
	v_fma_f64 v[58:59], v[104:105], s[14:15], -v[54:55]
	v_fma_f64 v[54:55], v[104:105], s[14:15], v[54:55]
	v_fma_f64 v[86:87], v[102:103], s[30:31], -v[52:53]
	v_add_f64 v[40:41], v[48:49], v[40:41]
	v_add_f64 v[28:29], v[62:63], v[28:29]
	v_fma_f64 v[48:49], v[102:103], s[20:21], -v[56:57]
	v_fma_f64 v[52:53], v[102:103], s[30:31], v[52:53]
	v_fma_f64 v[62:63], v[112:113], s[30:31], v[90:91]
	v_fma_f64 v[96:97], v[98:99], s[26:27], -v[84:85]
	v_fma_f64 v[56:57], v[102:103], s[20:21], v[56:57]
	v_mul_f64 v[102:103], v[154:155], s[12:13]
	v_add_f64 v[18:19], v[58:59], v[18:19]
	v_fma_f64 v[58:59], v[104:105], s[30:31], -v[60:61]
	v_fma_f64 v[60:61], v[104:105], s[30:31], v[60:61]
	v_add_f64 v[6:7], v[54:55], v[6:7]
	v_fma_f64 v[54:55], v[112:113], s[20:21], v[88:89]
	v_fma_f64 v[88:89], v[112:113], s[20:21], -v[88:89]
	v_mul_f64 v[104:105], v[154:155], s[16:17]
	v_add_f64 v[40:41], v[62:63], v[40:41]
	v_add_f64 v[18:19], v[86:87], v[18:19]
	;; [unrolled: 1-line block ×3, first 2 shown]
	v_mul_f64 v[58:59], v[136:137], s[38:39]
	v_mul_f64 v[86:87], v[136:137], s[16:17]
	v_add_f64 v[8:9], v[60:61], v[8:9]
	v_fma_f64 v[60:61], v[112:113], s[30:31], -v[90:91]
	v_mul_f64 v[90:91], v[152:153], s[16:17]
	v_add_f64 v[42:43], v[54:55], v[42:43]
	v_add_f64 v[6:7], v[52:53], v[6:7]
	v_fma_f64 v[54:55], v[148:149], s[26:27], v[94:95]
	v_mul_f64 v[112:113], v[154:155], s[24:25]
	v_add_f64 v[30:31], v[88:89], v[30:31]
	v_fma_f64 v[88:89], v[146:147], s[6:7], v[102:103]
	v_fma_f64 v[116:117], v[146:147], s[14:15], v[104:105]
	v_fma_f64 v[126:127], v[146:147], s[14:15], -v[104:105]
	v_add_f64 v[18:19], v[96:97], v[18:19]
	v_add_f64 v[20:21], v[48:49], v[20:21]
	v_fma_f64 v[92:93], v[98:99], s[36:37], -v[58:59]
	v_fma_f64 v[44:45], v[98:99], s[14:15], -v[86:87]
	v_fma_f64 v[48:49], v[98:99], s[36:37], v[58:59]
	v_add_f64 v[28:29], v[60:61], v[28:29]
	v_fma_f64 v[52:53], v[148:149], s[14:15], v[90:91]
	v_fma_f64 v[58:59], v[148:149], s[36:37], v[100:101]
	;; [unrolled: 1-line block ×4, first 2 shown]
	v_fma_f64 v[86:87], v[148:149], s[36:37], -v[100:101]
	v_mul_f64 v[98:99], v[150:151], s[2:3]
	v_mul_f64 v[100:101], v[154:155], s[2:3]
	;; [unrolled: 1-line block ×4, first 2 shown]
	v_add_f64 v[8:9], v[56:57], v[8:9]
	v_mul_f64 v[56:57], v[154:155], s[22:23]
	v_fma_f64 v[90:91], v[148:149], s[14:15], -v[90:91]
	v_add_f64 v[40:41], v[54:55], v[40:41]
	v_fma_f64 v[118:119], v[146:147], s[20:21], v[112:113]
	v_fma_f64 v[112:113], v[146:147], s[20:21], -v[112:113]
	v_add_f64 v[4:5], v[92:93], v[4:5]
	v_fma_f64 v[92:93], v[148:149], s[26:27], -v[94:95]
	v_mul_f64 v[94:95], v[150:151], s[16:17]
	v_add_f64 v[20:21], v[44:45], v[20:21]
	v_add_f64 v[42:43], v[52:53], v[42:43]
	;; [unrolled: 1-line block ×5, first 2 shown]
	v_fma_f64 v[44:45], v[144:145], s[20:21], -v[46:47]
	v_fma_f64 v[58:59], v[144:145], s[0:1], -v[98:99]
	v_fma_f64 v[60:61], v[146:147], s[0:1], v[100:101]
	v_fma_f64 v[54:55], v[144:145], s[6:7], -v[96:97]
	v_fma_f64 v[48:49], v[144:145], s[18:19], -v[84:85]
	v_fma_f64 v[46:47], v[144:145], s[20:21], v[46:47]
	v_fma_f64 v[50:51], v[146:147], s[18:19], v[56:57]
	;; [unrolled: 1-line block ×3, first 2 shown]
	v_fma_f64 v[56:57], v[146:147], s[18:19], -v[56:57]
	v_add_f64 v[38:39], v[86:87], v[38:39]
	v_fma_f64 v[124:125], v[144:145], s[6:7], v[96:97]
	v_add_f64 v[8:9], v[62:63], v[8:9]
	v_fma_f64 v[62:63], v[146:147], s[6:7], -v[102:103]
	v_fma_f64 v[128:129], v[144:145], s[0:1], v[98:99]
	v_fma_f64 v[132:133], v[146:147], s[0:1], -v[100:101]
	v_add_f64 v[28:29], v[92:93], v[28:29]
	v_fma_f64 v[52:53], v[144:145], s[14:15], -v[94:95]
	v_fma_f64 v[122:123], v[144:145], s[14:15], v[94:95]
	v_add_f64 v[30:31], v[90:91], v[30:31]
	v_add_f64 v[86:87], v[106:107], v[10:11]
	v_add_f64 v[100:101], v[88:89], v[40:41]
	v_add_f64 v[96:97], v[116:117], v[26:27]
	v_add_f64 v[90:91], v[44:45], v[12:13]
	v_add_f64 v[106:107], v[58:59], v[20:21]
	v_add_f64 v[104:105], v[60:61], v[42:43]
	v_add_f64 v[102:103], v[54:55], v[18:19]
	v_add_f64 v[94:95], v[48:49], v[2:3]
	v_add_f64 v[88:89], v[118:119], v[22:23]
	v_add_f64 v[92:93], v[50:51], v[24:25]
	v_add_f64 v[84:85], v[114:115], v[32:33]
	v_add_f64 v[114:115], v[46:47], v[0:1]
	v_add_f64 v[112:113], v[112:113], v[34:35]
	v_add_f64 v[118:119], v[120:121], v[14:15]
	v_add_f64 v[116:117], v[56:57], v[36:37]
	v_add_f64 v[120:121], v[126:127], v[38:39]
	v_add_f64 v[126:127], v[124:125], v[6:7]
	v_add_f64 v[130:131], v[128:129], v[8:9]
	v_add_f64 v[124:125], v[62:63], v[28:29]
	v_add_f64 v[98:99], v[52:53], v[4:5]
	v_add_f64 v[122:123], v[122:123], v[16:17]
	v_add_f64 v[128:129], v[132:133], v[30:31]
	v_lshl_add_u32 v0, v253, 4, v254
	ds_write_b128 v255, v[108:111]
	ds_write_b128 v0, v[104:107] offset:256
	ds_write_b128 v0, v[100:103] offset:512
	ds_write_b128 v0, v[96:99] offset:768
	ds_write_b128 v0, v[92:95] offset:1024
	ds_write_b128 v0, v[88:91] offset:1280
	ds_write_b128 v0, v[84:87] offset:1536
	ds_write_b128 v0, v[76:79] offset:1792
	ds_write_b128 v0, v[68:71] offset:2048
	ds_write_b128 v0, v[64:67] offset:2304
	ds_write_b128 v0, v[72:75] offset:2560
	ds_write_b128 v0, v[80:83] offset:2816
	ds_write_b128 v0, v[112:115] offset:3072
	ds_write_b128 v0, v[116:119] offset:3328
	ds_write_b128 v0, v[120:123] offset:3584
	ds_write_b128 v0, v[124:127] offset:3840
	ds_write_b128 v0, v[128:131] offset:4096
.LBB0_9:
	s_or_b32 exec_lo, exec_lo, s33
	s_waitcnt lgkmcnt(0)
	s_barrier
	buffer_gl0_inv
	ds_read_b128 v[64:67], v255
	ds_read_b128 v[68:71], v255 offset:272
	ds_read_b128 v[72:75], v255 offset:544
	;; [unrolled: 1-line block ×5, first 2 shown]
	s_clause 0x7
	buffer_load_dword v46, off, s[56:59], 0 offset:240
	buffer_load_dword v47, off, s[56:59], 0 offset:244
	;; [unrolled: 1-line block ×8, first 2 shown]
	ds_read_b128 v[88:91], v255 offset:1632
	ds_read_b128 v[92:95], v255 offset:1904
	s_clause 0x3
	buffer_load_dword v34, off, s[56:59], 0 offset:64
	buffer_load_dword v35, off, s[56:59], 0 offset:68
	;; [unrolled: 1-line block ×4, first 2 shown]
	v_mad_u64_u32 v[0:1], null, s10, v196, 0
	v_mad_u64_u32 v[2:3], null, s8, v253, 0
	s_mov_b32 s0, 0x1e1e1e1e
	s_mov_b32 s1, 0x3f6e1e1e
	s_mul_i32 s3, s9, 0x110
	s_mul_hi_u32 s6, s8, 0x110
	s_mul_i32 s2, s8, 0x110
	s_add_i32 s3, s6, s3
	v_mad_u64_u32 v[12:13], null, s11, v196, v[1:2]
	v_mov_b32_e32 v1, v12
	v_lshlrev_b64 v[0:1], 4, v[0:1]
	s_waitcnt vmcnt(8) lgkmcnt(7)
	v_mul_f64 v[4:5], v[48:49], v[66:67]
	v_mul_f64 v[6:7], v[48:49], v[64:65]
	s_waitcnt vmcnt(4) lgkmcnt(6)
	v_mul_f64 v[8:9], v[32:33], v[70:71]
	s_waitcnt vmcnt(0) lgkmcnt(5)
	v_mul_f64 v[16:17], v[36:37], v[72:73]
	v_mul_f64 v[10:11], v[32:33], v[68:69]
	v_mad_u64_u32 v[13:14], null, s9, v253, v[3:4]
	v_mul_f64 v[14:15], v[36:37], v[74:75]
	s_clause 0x7
	buffer_load_dword v36, off, s[56:59], 0 offset:112
	buffer_load_dword v37, off, s[56:59], 0 offset:116
	;; [unrolled: 1-line block ×8, first 2 shown]
	v_fma_f64 v[4:5], v[46:47], v[64:65], v[4:5]
	v_fma_f64 v[6:7], v[46:47], v[66:67], -v[6:7]
	v_fma_f64 v[8:9], v[30:31], v[68:69], v[8:9]
	v_fma_f64 v[10:11], v[30:31], v[70:71], -v[10:11]
	v_mov_b32_e32 v3, v13
	v_fma_f64 v[16:17], v[34:35], v[74:75], -v[16:17]
	v_lshlrev_b64 v[32:33], 4, v[2:3]
	v_fma_f64 v[14:15], v[34:35], v[72:73], v[14:15]
	v_mul_f64 v[2:3], v[6:7], s[0:1]
	v_mul_f64 v[8:9], v[8:9], s[0:1]
	v_mul_f64 v[10:11], v[10:11], s[0:1]
	s_waitcnt vmcnt(4) lgkmcnt(4)
	v_mul_f64 v[18:19], v[38:39], v[78:79]
	s_waitcnt vmcnt(0) lgkmcnt(3)
	v_mul_f64 v[22:23], v[42:43], v[82:83]
	v_mul_f64 v[24:25], v[42:43], v[80:81]
	s_clause 0x7
	buffer_load_dword v42, off, s[56:59], 0 offset:192
	buffer_load_dword v43, off, s[56:59], 0 offset:196
	;; [unrolled: 1-line block ×8, first 2 shown]
	v_mul_f64 v[20:21], v[38:39], v[76:77]
	v_add_co_u32 v38, vcc_lo, s4, v0
	v_add_co_ci_u32_e32 v39, vcc_lo, s5, v1, vcc_lo
	v_mul_f64 v[0:1], v[4:5], s[0:1]
	v_add_co_u32 v4, vcc_lo, v38, v32
	v_add_co_ci_u32_e32 v5, vcc_lo, v39, v33, vcc_lo
	s_clause 0x3
	buffer_load_dword v52, off, s[56:59], 0 offset:160
	buffer_load_dword v53, off, s[56:59], 0 offset:164
	;; [unrolled: 1-line block ×4, first 2 shown]
	v_add_co_u32 v38, vcc_lo, v4, s2
	v_add_co_ci_u32_e32 v39, vcc_lo, s3, v5, vcc_lo
	global_store_dwordx4 v[4:5], v[0:3], off
	global_store_dwordx4 v[38:39], v[8:11], off
	v_fma_f64 v[18:19], v[36:37], v[76:77], v[18:19]
	v_fma_f64 v[34:35], v[36:37], v[78:79], -v[20:21]
	v_fma_f64 v[36:37], v[40:41], v[80:81], v[22:23]
	v_add_co_u32 v50, vcc_lo, v38, s2
	v_fma_f64 v[24:25], v[40:41], v[82:83], -v[24:25]
	v_add_co_ci_u32_e32 v51, vcc_lo, s3, v39, vcc_lo
	ds_read_b128 v[0:3], v255 offset:2176
	v_mul_f64 v[20:21], v[14:15], s[0:1]
	v_mul_f64 v[22:23], v[16:17], s[0:1]
	v_add_co_u32 v14, vcc_lo, v50, s2
	v_add_co_ci_u32_e32 v15, vcc_lo, s3, v51, vcc_lo
	v_add_co_u32 v16, vcc_lo, v14, s2
	v_add_co_ci_u32_e32 v17, vcc_lo, s3, v15, vcc_lo
	v_mul_f64 v[32:33], v[18:19], s[0:1]
	v_mul_f64 v[34:35], v[34:35], s[0:1]
	;; [unrolled: 1-line block ×3, first 2 shown]
	s_waitcnt vmcnt(8) lgkmcnt(3)
	v_mul_f64 v[26:27], v[44:45], v[86:87]
	s_waitcnt vmcnt(4) lgkmcnt(2)
	v_mul_f64 v[12:13], v[48:49], v[90:91]
	v_mul_f64 v[30:31], v[48:49], v[88:89]
	;; [unrolled: 1-line block ×3, first 2 shown]
	s_waitcnt vmcnt(0) lgkmcnt(1)
	v_mul_f64 v[6:7], v[54:55], v[94:95]
	v_mul_f64 v[44:45], v[54:55], v[92:93]
	v_fma_f64 v[26:27], v[42:43], v[84:85], v[26:27]
	v_fma_f64 v[4:5], v[46:47], v[88:89], v[12:13]
	v_fma_f64 v[12:13], v[46:47], v[90:91], -v[30:31]
	ds_read_b128 v[46:49], v255 offset:2448
	s_clause 0x3
	buffer_load_dword v36, off, s[56:59], 0
	buffer_load_dword v37, off, s[56:59], 0 offset:4
	buffer_load_dword v38, off, s[56:59], 0 offset:8
	;; [unrolled: 1-line block ×3, first 2 shown]
	v_fma_f64 v[28:29], v[42:43], v[86:87], -v[28:29]
	v_mul_f64 v[42:43], v[24:25], s[0:1]
	v_add_co_u32 v24, vcc_lo, v16, s2
	v_add_co_ci_u32_e32 v25, vcc_lo, s3, v17, vcc_lo
	global_store_dwordx4 v[50:51], v[20:23], off
	global_store_dwordx4 v[14:15], v[32:35], off
	ds_read_b128 v[20:23], v255 offset:2720
	v_fma_f64 v[18:19], v[52:53], v[92:93], v[6:7]
	v_mul_f64 v[8:9], v[26:27], s[0:1]
	v_fma_f64 v[26:27], v[52:53], v[94:95], -v[44:45]
	v_mul_f64 v[6:7], v[4:5], s[0:1]
	v_mul_f64 v[10:11], v[28:29], s[0:1]
	global_store_dwordx4 v[16:17], v[40:43], off
	global_store_dwordx4 v[24:25], v[8:11], off
	v_mul_f64 v[8:9], v[12:13], s[0:1]
	v_add_co_u32 v12, vcc_lo, v24, s2
	v_add_co_ci_u32_e32 v13, vcc_lo, s3, v25, vcc_lo
	v_mul_f64 v[70:71], v[26:27], s[0:1]
	v_mul_f64 v[68:69], v[18:19], s[0:1]
	v_add_co_u32 v18, vcc_lo, v12, s2
	v_add_co_ci_u32_e32 v19, vcc_lo, s3, v13, vcc_lo
	s_waitcnt vmcnt(0) lgkmcnt(2)
	v_mul_f64 v[28:29], v[38:39], v[2:3]
	v_mul_f64 v[30:31], v[38:39], v[0:1]
	s_clause 0x3
	buffer_load_dword v38, off, s[56:59], 0 offset:32
	buffer_load_dword v39, off, s[56:59], 0 offset:36
	;; [unrolled: 1-line block ×4, first 2 shown]
	ds_read_b128 v[32:35], v255 offset:2992
	v_fma_f64 v[0:1], v[36:37], v[0:1], v[28:29]
	v_fma_f64 v[2:3], v[36:37], v[2:3], -v[30:31]
	v_mul_f64 v[0:1], v[0:1], s[0:1]
	v_mul_f64 v[2:3], v[2:3], s[0:1]
	s_waitcnt vmcnt(0) lgkmcnt(2)
	v_mul_f64 v[4:5], v[40:41], v[48:49]
	v_mul_f64 v[10:11], v[40:41], v[46:47]
	ds_read_b128 v[40:43], v255 offset:3264
	ds_read_b128 v[50:53], v255 offset:3536
	;; [unrolled: 1-line block ×4, first 2 shown]
	s_clause 0x3
	buffer_load_dword v56, off, s[56:59], 0 offset:48
	buffer_load_dword v57, off, s[56:59], 0 offset:52
	;; [unrolled: 1-line block ×4, first 2 shown]
	v_fma_f64 v[4:5], v[38:39], v[46:47], v[4:5]
	v_fma_f64 v[10:11], v[38:39], v[48:49], -v[10:11]
	v_mul_f64 v[4:5], v[4:5], s[0:1]
	s_waitcnt vmcnt(0) lgkmcnt(5)
	v_mul_f64 v[14:15], v[58:59], v[22:23]
	v_mul_f64 v[16:17], v[58:59], v[20:21]
	s_clause 0x3
	buffer_load_dword v58, off, s[56:59], 0 offset:80
	buffer_load_dword v59, off, s[56:59], 0 offset:84
	buffer_load_dword v60, off, s[56:59], 0 offset:88
	buffer_load_dword v61, off, s[56:59], 0 offset:92
	s_waitcnt vmcnt(0) lgkmcnt(4)
	v_mul_f64 v[24:25], v[60:61], v[34:35]
	v_mul_f64 v[26:27], v[60:61], v[32:33]
	s_clause 0x7
	buffer_load_dword v60, off, s[56:59], 0 offset:96
	buffer_load_dword v61, off, s[56:59], 0 offset:100
	;; [unrolled: 1-line block ×8, first 2 shown]
	s_waitcnt vmcnt(4) lgkmcnt(3)
	v_mul_f64 v[28:29], v[62:63], v[42:43]
	s_waitcnt vmcnt(0) lgkmcnt(2)
	v_mul_f64 v[36:37], v[78:79], v[52:53]
	v_mul_f64 v[38:39], v[78:79], v[50:51]
	s_clause 0x3
	buffer_load_dword v78, off, s[56:59], 0 offset:208
	buffer_load_dword v79, off, s[56:59], 0 offset:212
	;; [unrolled: 1-line block ×4, first 2 shown]
	v_mul_f64 v[30:31], v[62:63], v[40:41]
	s_waitcnt vmcnt(0) lgkmcnt(1)
	v_mul_f64 v[44:45], v[80:81], v[66:67]
	v_mul_f64 v[46:47], v[80:81], v[64:65]
	s_clause 0x3
	buffer_load_dword v80, off, s[56:59], 0 offset:224
	buffer_load_dword v81, off, s[56:59], 0 offset:228
	;; [unrolled: 1-line block ×4, first 2 shown]
	global_store_dwordx4 v[12:13], v[6:9], off
	global_store_dwordx4 v[18:19], v[68:71], off
	v_fma_f64 v[8:9], v[56:57], v[20:21], v[14:15]
	v_fma_f64 v[12:13], v[56:57], v[22:23], -v[16:17]
	v_add_co_u32 v56, vcc_lo, v18, s2
	v_fma_f64 v[14:15], v[58:59], v[32:33], v[24:25]
	v_fma_f64 v[16:17], v[58:59], v[34:35], -v[26:27]
	v_add_co_ci_u32_e32 v57, vcc_lo, s3, v19, vcc_lo
	v_fma_f64 v[18:19], v[60:61], v[40:41], v[28:29]
	v_fma_f64 v[20:21], v[60:61], v[42:43], -v[30:31]
	v_fma_f64 v[22:23], v[76:77], v[50:51], v[36:37]
	v_fma_f64 v[24:25], v[76:77], v[52:53], -v[38:39]
	v_add_co_u32 v34, vcc_lo, v56, s2
	v_add_co_ci_u32_e32 v35, vcc_lo, s3, v57, vcc_lo
	v_mul_f64 v[6:7], v[10:11], s[0:1]
	v_add_co_u32 v36, vcc_lo, v34, s2
	v_fma_f64 v[26:27], v[78:79], v[64:65], v[44:45]
	v_fma_f64 v[28:29], v[78:79], v[66:67], -v[46:47]
	v_add_co_ci_u32_e32 v37, vcc_lo, s3, v35, vcc_lo
	v_add_co_u32 v38, vcc_lo, v36, s2
	v_mul_f64 v[8:9], v[8:9], s[0:1]
	v_mul_f64 v[10:11], v[12:13], s[0:1]
	;; [unrolled: 1-line block ×4, first 2 shown]
	v_add_co_ci_u32_e32 v39, vcc_lo, s3, v37, vcc_lo
	v_mul_f64 v[16:17], v[18:19], s[0:1]
	v_mul_f64 v[18:19], v[20:21], s[0:1]
	;; [unrolled: 1-line block ×4, first 2 shown]
	global_store_dwordx4 v[56:57], v[0:3], off
	global_store_dwordx4 v[34:35], v[4:7], off
	v_mul_f64 v[24:25], v[26:27], s[0:1]
	v_mul_f64 v[26:27], v[28:29], s[0:1]
	global_store_dwordx4 v[36:37], v[8:11], off
	s_waitcnt vmcnt(0) lgkmcnt(0)
	v_mul_f64 v[48:49], v[82:83], v[74:75]
	v_mul_f64 v[54:55], v[82:83], v[72:73]
	v_fma_f64 v[30:31], v[80:81], v[72:73], v[48:49]
	v_fma_f64 v[32:33], v[80:81], v[74:75], -v[54:55]
	v_mul_f64 v[28:29], v[30:31], s[0:1]
	v_mul_f64 v[30:31], v[32:33], s[0:1]
	v_add_co_u32 v32, vcc_lo, v38, s2
	v_add_co_ci_u32_e32 v33, vcc_lo, s3, v39, vcc_lo
	v_add_co_u32 v0, vcc_lo, v32, s2
	v_add_co_ci_u32_e32 v1, vcc_lo, s3, v33, vcc_lo
	;; [unrolled: 2-line block ×4, first 2 shown]
	global_store_dwordx4 v[38:39], v[12:15], off
	global_store_dwordx4 v[32:33], v[16:19], off
	;; [unrolled: 1-line block ×5, first 2 shown]
.LBB0_10:
	s_endpgm
	.section	.rodata,"a",@progbits
	.p2align	6, 0x0
	.amdhsa_kernel bluestein_single_fwd_len272_dim1_dp_op_CI_CI
		.amdhsa_group_segment_fixed_size 30464
		.amdhsa_private_segment_fixed_size 556
		.amdhsa_kernarg_size 104
		.amdhsa_user_sgpr_count 6
		.amdhsa_user_sgpr_private_segment_buffer 1
		.amdhsa_user_sgpr_dispatch_ptr 0
		.amdhsa_user_sgpr_queue_ptr 0
		.amdhsa_user_sgpr_kernarg_segment_ptr 1
		.amdhsa_user_sgpr_dispatch_id 0
		.amdhsa_user_sgpr_flat_scratch_init 0
		.amdhsa_user_sgpr_private_segment_size 0
		.amdhsa_wavefront_size32 1
		.amdhsa_uses_dynamic_stack 0
		.amdhsa_system_sgpr_private_segment_wavefront_offset 1
		.amdhsa_system_sgpr_workgroup_id_x 1
		.amdhsa_system_sgpr_workgroup_id_y 0
		.amdhsa_system_sgpr_workgroup_id_z 0
		.amdhsa_system_sgpr_workgroup_info 0
		.amdhsa_system_vgpr_workitem_id 0
		.amdhsa_next_free_vgpr 256
		.amdhsa_next_free_sgpr 60
		.amdhsa_reserve_vcc 1
		.amdhsa_reserve_flat_scratch 0
		.amdhsa_float_round_mode_32 0
		.amdhsa_float_round_mode_16_64 0
		.amdhsa_float_denorm_mode_32 3
		.amdhsa_float_denorm_mode_16_64 3
		.amdhsa_dx10_clamp 1
		.amdhsa_ieee_mode 1
		.amdhsa_fp16_overflow 0
		.amdhsa_workgroup_processor_mode 1
		.amdhsa_memory_ordered 1
		.amdhsa_forward_progress 0
		.amdhsa_shared_vgpr_count 0
		.amdhsa_exception_fp_ieee_invalid_op 0
		.amdhsa_exception_fp_denorm_src 0
		.amdhsa_exception_fp_ieee_div_zero 0
		.amdhsa_exception_fp_ieee_overflow 0
		.amdhsa_exception_fp_ieee_underflow 0
		.amdhsa_exception_fp_ieee_inexact 0
		.amdhsa_exception_int_div_zero 0
	.end_amdhsa_kernel
	.text
.Lfunc_end0:
	.size	bluestein_single_fwd_len272_dim1_dp_op_CI_CI, .Lfunc_end0-bluestein_single_fwd_len272_dim1_dp_op_CI_CI
                                        ; -- End function
	.section	.AMDGPU.csdata,"",@progbits
; Kernel info:
; codeLenInByte = 24172
; NumSgprs: 62
; NumVgprs: 256
; ScratchSize: 556
; MemoryBound: 0
; FloatMode: 240
; IeeeMode: 1
; LDSByteSize: 30464 bytes/workgroup (compile time only)
; SGPRBlocks: 7
; VGPRBlocks: 31
; NumSGPRsForWavesPerEU: 62
; NumVGPRsForWavesPerEU: 256
; Occupancy: 4
; WaveLimiterHint : 1
; COMPUTE_PGM_RSRC2:SCRATCH_EN: 1
; COMPUTE_PGM_RSRC2:USER_SGPR: 6
; COMPUTE_PGM_RSRC2:TRAP_HANDLER: 0
; COMPUTE_PGM_RSRC2:TGID_X_EN: 1
; COMPUTE_PGM_RSRC2:TGID_Y_EN: 0
; COMPUTE_PGM_RSRC2:TGID_Z_EN: 0
; COMPUTE_PGM_RSRC2:TIDIG_COMP_CNT: 0
	.text
	.p2alignl 6, 3214868480
	.fill 48, 4, 3214868480
	.type	__hip_cuid_598e07cc14a47186,@object ; @__hip_cuid_598e07cc14a47186
	.section	.bss,"aw",@nobits
	.globl	__hip_cuid_598e07cc14a47186
__hip_cuid_598e07cc14a47186:
	.byte	0                               ; 0x0
	.size	__hip_cuid_598e07cc14a47186, 1

	.ident	"AMD clang version 19.0.0git (https://github.com/RadeonOpenCompute/llvm-project roc-6.4.0 25133 c7fe45cf4b819c5991fe208aaa96edf142730f1d)"
	.section	".note.GNU-stack","",@progbits
	.addrsig
	.addrsig_sym __hip_cuid_598e07cc14a47186
	.amdgpu_metadata
---
amdhsa.kernels:
  - .args:
      - .actual_access:  read_only
        .address_space:  global
        .offset:         0
        .size:           8
        .value_kind:     global_buffer
      - .actual_access:  read_only
        .address_space:  global
        .offset:         8
        .size:           8
        .value_kind:     global_buffer
      - .actual_access:  read_only
        .address_space:  global
        .offset:         16
        .size:           8
        .value_kind:     global_buffer
      - .actual_access:  read_only
        .address_space:  global
        .offset:         24
        .size:           8
        .value_kind:     global_buffer
      - .actual_access:  read_only
        .address_space:  global
        .offset:         32
        .size:           8
        .value_kind:     global_buffer
      - .offset:         40
        .size:           8
        .value_kind:     by_value
      - .address_space:  global
        .offset:         48
        .size:           8
        .value_kind:     global_buffer
      - .address_space:  global
        .offset:         56
        .size:           8
        .value_kind:     global_buffer
      - .address_space:  global
        .offset:         64
        .size:           8
        .value_kind:     global_buffer
      - .address_space:  global
        .offset:         72
        .size:           8
        .value_kind:     global_buffer
      - .offset:         80
        .size:           4
        .value_kind:     by_value
      - .address_space:  global
        .offset:         88
        .size:           8
        .value_kind:     global_buffer
      - .address_space:  global
        .offset:         96
        .size:           8
        .value_kind:     global_buffer
    .group_segment_fixed_size: 30464
    .kernarg_segment_align: 8
    .kernarg_segment_size: 104
    .language:       OpenCL C
    .language_version:
      - 2
      - 0
    .max_flat_workgroup_size: 119
    .name:           bluestein_single_fwd_len272_dim1_dp_op_CI_CI
    .private_segment_fixed_size: 556
    .sgpr_count:     62
    .sgpr_spill_count: 0
    .symbol:         bluestein_single_fwd_len272_dim1_dp_op_CI_CI.kd
    .uniform_work_group_size: 1
    .uses_dynamic_stack: false
    .vgpr_count:     256
    .vgpr_spill_count: 142
    .wavefront_size: 32
    .workgroup_processor_mode: 1
amdhsa.target:   amdgcn-amd-amdhsa--gfx1030
amdhsa.version:
  - 1
  - 2
...

	.end_amdgpu_metadata
